;; amdgpu-corpus repo=ROCm/rocFFT kind=compiled arch=gfx950 opt=O3
	.text
	.amdgcn_target "amdgcn-amd-amdhsa--gfx950"
	.amdhsa_code_object_version 6
	.protected	fft_rtc_back_len595_factors_7_17_5_wgs_51_tpt_17_halfLds_dp_ip_CI_unitstride_sbrr_dirReg ; -- Begin function fft_rtc_back_len595_factors_7_17_5_wgs_51_tpt_17_halfLds_dp_ip_CI_unitstride_sbrr_dirReg
	.globl	fft_rtc_back_len595_factors_7_17_5_wgs_51_tpt_17_halfLds_dp_ip_CI_unitstride_sbrr_dirReg
	.p2align	8
	.type	fft_rtc_back_len595_factors_7_17_5_wgs_51_tpt_17_halfLds_dp_ip_CI_unitstride_sbrr_dirReg,@function
fft_rtc_back_len595_factors_7_17_5_wgs_51_tpt_17_halfLds_dp_ip_CI_unitstride_sbrr_dirReg: ; @fft_rtc_back_len595_factors_7_17_5_wgs_51_tpt_17_halfLds_dp_ip_CI_unitstride_sbrr_dirReg
; %bb.0:
	s_load_dwordx2 s[8:9], s[0:1], 0x50
	s_load_dwordx4 s[4:7], s[0:1], 0x0
	s_load_dwordx2 s[10:11], s[0:1], 0x18
	v_mul_u32_u24_e32 v1, 0xf10, v0
	v_lshrrev_b32_e32 v2, 16, v1
	v_mad_u64_u32 v[4:5], s[2:3], s2, 3, v[2:3]
	v_mov_b32_e32 v6, 0
	v_mov_b32_e32 v5, v6
	s_waitcnt lgkmcnt(0)
	v_cmp_lt_u64_e64 s[2:3], s[6:7], 2
	s_and_b64 vcc, exec, s[2:3]
	v_mov_b64_e32 v[2:3], 0
	v_mov_b64_e32 v[10:11], v[4:5]
	s_cbranch_vccnz .LBB0_8
; %bb.1:
	s_load_dwordx2 s[2:3], s[0:1], 0x10
	s_add_u32 s12, s10, 8
	s_addc_u32 s13, s11, 0
	s_mov_b64 s[14:15], 1
	v_mov_b64_e32 v[2:3], 0
	s_waitcnt lgkmcnt(0)
	s_add_u32 s16, s2, 8
	s_addc_u32 s17, s3, 0
	v_mov_b64_e32 v[8:9], v[4:5]
.LBB0_2:                                ; =>This Inner Loop Header: Depth=1
	s_load_dwordx2 s[18:19], s[16:17], 0x0
                                        ; implicit-def: $vgpr10_vgpr11
	s_waitcnt lgkmcnt(0)
	v_or_b32_e32 v7, s19, v9
	v_cmp_ne_u64_e32 vcc, 0, v[6:7]
	s_and_saveexec_b64 s[2:3], vcc
	s_xor_b64 s[20:21], exec, s[2:3]
	s_cbranch_execz .LBB0_4
; %bb.3:                                ;   in Loop: Header=BB0_2 Depth=1
	v_cvt_f32_u32_e32 v1, s18
	v_cvt_f32_u32_e32 v5, s19
	s_sub_u32 s2, 0, s18
	s_subb_u32 s3, 0, s19
	v_fmac_f32_e32 v1, 0x4f800000, v5
	v_rcp_f32_e32 v1, v1
	s_nop 0
	v_mul_f32_e32 v1, 0x5f7ffffc, v1
	v_mul_f32_e32 v5, 0x2f800000, v1
	v_trunc_f32_e32 v5, v5
	v_fmac_f32_e32 v1, 0xcf800000, v5
	v_cvt_u32_f32_e32 v5, v5
	v_cvt_u32_f32_e32 v1, v1
	v_mul_lo_u32 v7, s2, v5
	v_mul_hi_u32 v10, s2, v1
	v_mul_lo_u32 v11, s3, v1
	v_add_u32_e32 v7, v10, v7
	v_mul_lo_u32 v14, s2, v1
	v_add_u32_e32 v7, v7, v11
	v_mul_hi_u32 v10, v1, v14
	v_mul_hi_u32 v13, v1, v7
	v_mul_lo_u32 v12, v1, v7
	v_mov_b32_e32 v11, v6
	v_lshl_add_u64 v[10:11], v[10:11], 0, v[12:13]
	v_mul_hi_u32 v13, v5, v14
	v_mul_lo_u32 v14, v5, v14
	v_add_co_u32_e32 v10, vcc, v10, v14
	v_mul_hi_u32 v12, v5, v7
	s_nop 0
	v_addc_co_u32_e32 v10, vcc, v11, v13, vcc
	v_mov_b32_e32 v11, v6
	s_nop 0
	v_addc_co_u32_e32 v13, vcc, 0, v12, vcc
	v_mul_lo_u32 v12, v5, v7
	v_lshl_add_u64 v[10:11], v[10:11], 0, v[12:13]
	v_add_co_u32_e32 v1, vcc, v1, v10
	v_mul_hi_u32 v10, s2, v1
	s_nop 0
	v_addc_co_u32_e32 v5, vcc, v5, v11, vcc
	v_mul_lo_u32 v7, s2, v5
	v_add_u32_e32 v7, v10, v7
	v_mul_lo_u32 v10, s3, v1
	v_add_u32_e32 v7, v7, v10
	v_mul_lo_u32 v12, s2, v1
	v_mul_hi_u32 v15, v5, v12
	v_mul_lo_u32 v16, v5, v12
	v_mul_hi_u32 v11, v1, v7
	;; [unrolled: 2-line block ×3, first 2 shown]
	v_mov_b32_e32 v13, v6
	v_lshl_add_u64 v[10:11], v[12:13], 0, v[10:11]
	v_add_co_u32_e32 v10, vcc, v10, v16
	v_mul_hi_u32 v14, v5, v7
	s_nop 0
	v_addc_co_u32_e32 v10, vcc, v11, v15, vcc
	v_mul_lo_u32 v12, v5, v7
	s_nop 0
	v_addc_co_u32_e32 v13, vcc, 0, v14, vcc
	v_mov_b32_e32 v11, v6
	v_lshl_add_u64 v[10:11], v[10:11], 0, v[12:13]
	v_add_co_u32_e32 v1, vcc, v1, v10
	v_mul_hi_u32 v12, v8, v1
	s_nop 0
	v_addc_co_u32_e32 v5, vcc, v5, v11, vcc
	v_mad_u64_u32 v[10:11], s[2:3], v8, v5, 0
	v_mov_b32_e32 v13, v6
	v_lshl_add_u64 v[10:11], v[12:13], 0, v[10:11]
	v_mad_u64_u32 v[14:15], s[2:3], v9, v1, 0
	v_add_co_u32_e32 v1, vcc, v10, v14
	v_mad_u64_u32 v[12:13], s[2:3], v9, v5, 0
	s_nop 0
	v_addc_co_u32_e32 v10, vcc, v11, v15, vcc
	v_mov_b32_e32 v11, v6
	s_nop 0
	v_addc_co_u32_e32 v13, vcc, 0, v13, vcc
	v_lshl_add_u64 v[10:11], v[10:11], 0, v[12:13]
	v_mul_lo_u32 v1, s19, v10
	v_mul_lo_u32 v5, s18, v11
	v_mad_u64_u32 v[12:13], s[2:3], s18, v10, 0
	v_add3_u32 v1, v13, v5, v1
	v_sub_u32_e32 v5, v9, v1
	v_mov_b32_e32 v7, s19
	v_sub_co_u32_e32 v16, vcc, v8, v12
	v_lshl_add_u64 v[14:15], v[10:11], 0, 1
	s_nop 0
	v_subb_co_u32_e64 v5, s[2:3], v5, v7, vcc
	v_subrev_co_u32_e64 v7, s[2:3], s18, v16
	v_subb_co_u32_e32 v1, vcc, v9, v1, vcc
	s_nop 0
	v_subbrev_co_u32_e64 v5, s[2:3], 0, v5, s[2:3]
	v_cmp_le_u32_e64 s[2:3], s19, v5
	v_cmp_le_u32_e32 vcc, s19, v1
	s_nop 0
	v_cndmask_b32_e64 v12, 0, -1, s[2:3]
	v_cmp_le_u32_e64 s[2:3], s18, v7
	s_nop 1
	v_cndmask_b32_e64 v7, 0, -1, s[2:3]
	v_cmp_eq_u32_e64 s[2:3], s19, v5
	s_nop 1
	v_cndmask_b32_e64 v5, v12, v7, s[2:3]
	v_lshl_add_u64 v[12:13], v[10:11], 0, 2
	v_cmp_ne_u32_e64 s[2:3], 0, v5
	v_cndmask_b32_e64 v7, 0, -1, vcc
	v_cmp_le_u32_e32 vcc, s18, v16
	v_cndmask_b32_e64 v5, v15, v13, s[2:3]
	s_nop 0
	v_cndmask_b32_e64 v13, 0, -1, vcc
	v_cmp_eq_u32_e32 vcc, s19, v1
	s_nop 1
	v_cndmask_b32_e32 v1, v7, v13, vcc
	v_cmp_ne_u32_e32 vcc, 0, v1
	v_cndmask_b32_e64 v1, v14, v12, s[2:3]
	s_nop 0
	v_cndmask_b32_e32 v11, v11, v5, vcc
	v_cndmask_b32_e32 v10, v10, v1, vcc
.LBB0_4:                                ;   in Loop: Header=BB0_2 Depth=1
	s_andn2_saveexec_b64 s[2:3], s[20:21]
	s_cbranch_execz .LBB0_6
; %bb.5:                                ;   in Loop: Header=BB0_2 Depth=1
	v_cvt_f32_u32_e32 v1, s18
	s_sub_i32 s20, 0, s18
	v_mov_b32_e32 v11, v6
	v_rcp_iflag_f32_e32 v1, v1
	s_nop 0
	v_mul_f32_e32 v1, 0x4f7ffffe, v1
	v_cvt_u32_f32_e32 v1, v1
	v_mul_lo_u32 v5, s20, v1
	v_mul_hi_u32 v5, v1, v5
	v_add_u32_e32 v1, v1, v5
	v_mul_hi_u32 v1, v8, v1
	v_mul_lo_u32 v5, v1, s18
	v_sub_u32_e32 v5, v8, v5
	v_add_u32_e32 v7, 1, v1
	v_subrev_u32_e32 v10, s18, v5
	v_cmp_le_u32_e32 vcc, s18, v5
	s_nop 1
	v_cndmask_b32_e32 v5, v5, v10, vcc
	v_cndmask_b32_e32 v1, v1, v7, vcc
	v_add_u32_e32 v7, 1, v1
	v_cmp_le_u32_e32 vcc, s18, v5
	s_nop 1
	v_cndmask_b32_e32 v10, v1, v7, vcc
.LBB0_6:                                ;   in Loop: Header=BB0_2 Depth=1
	s_or_b64 exec, exec, s[2:3]
	v_mad_u64_u32 v[12:13], s[2:3], v10, s18, 0
	s_load_dwordx2 s[2:3], s[12:13], 0x0
	s_add_u32 s14, s14, 1
	v_mul_lo_u32 v1, v11, s18
	v_mul_lo_u32 v5, v10, s19
	s_addc_u32 s15, s15, 0
	v_add3_u32 v1, v13, v5, v1
	v_sub_co_u32_e32 v5, vcc, v8, v12
	s_add_u32 s12, s12, 8
	s_nop 0
	v_subb_co_u32_e32 v1, vcc, v9, v1, vcc
	s_addc_u32 s13, s13, 0
	v_mov_b64_e32 v[8:9], s[6:7]
	s_waitcnt lgkmcnt(0)
	v_mul_lo_u32 v1, s2, v1
	v_mul_lo_u32 v7, s3, v5
	v_mad_u64_u32 v[2:3], s[2:3], s2, v5, v[2:3]
	s_add_u32 s16, s16, 8
	v_cmp_ge_u64_e32 vcc, s[14:15], v[8:9]
	v_add3_u32 v3, v7, v3, v1
	s_addc_u32 s17, s17, 0
	s_cbranch_vccnz .LBB0_8
; %bb.7:                                ;   in Loop: Header=BB0_2 Depth=1
	v_mov_b64_e32 v[8:9], v[10:11]
	s_branch .LBB0_2
.LBB0_8:
	s_lshl_b64 s[2:3], s[6:7], 3
	s_add_u32 s2, s10, s2
	s_addc_u32 s3, s11, s3
	s_load_dwordx2 s[6:7], s[2:3], 0x0
	s_load_dwordx2 s[10:11], s[0:1], 0x20
                                        ; implicit-def: $vgpr100_vgpr101
                                        ; implicit-def: $vgpr88_vgpr89
                                        ; implicit-def: $vgpr84_vgpr85
                                        ; implicit-def: $vgpr64_vgpr65
                                        ; implicit-def: $vgpr60_vgpr61
                                        ; implicit-def: $vgpr56_vgpr57
                                        ; implicit-def: $vgpr36_vgpr37
                                        ; implicit-def: $vgpr116_vgpr117
                                        ; implicit-def: $vgpr112_vgpr113
                                        ; implicit-def: $vgpr104_vgpr105
                                        ; implicit-def: $vgpr108_vgpr109
                                        ; implicit-def: $vgpr52_vgpr53
                                        ; implicit-def: $vgpr96_vgpr97
                                        ; implicit-def: $vgpr32_vgpr33
                                        ; implicit-def: $vgpr80_vgpr81
                                        ; implicit-def: $vgpr124_vgpr125
                                        ; implicit-def: $vgpr128_vgpr129
                                        ; implicit-def: $vgpr120_vgpr121
                                        ; implicit-def: $vgpr92_vgpr93
                                        ; implicit-def: $vgpr48_vgpr49
                                        ; implicit-def: $vgpr76_vgpr77
                                        ; implicit-def: $vgpr156_vgpr157
                                        ; implicit-def: $vgpr144_vgpr145
                                        ; implicit-def: $vgpr132_vgpr133
                                        ; implicit-def: $vgpr140_vgpr141
                                        ; implicit-def: $vgpr40_vgpr41
                                        ; implicit-def: $vgpr72_vgpr73
                                        ; implicit-def: $vgpr204_vgpr205
                                        ; implicit-def: $vgpr192_vgpr193
                                        ; implicit-def: $vgpr176_vgpr177
                                        ; implicit-def: $vgpr172_vgpr173
                                        ; implicit-def: $vgpr68_vgpr69
                                        ; implicit-def: $vgpr136_vgpr137
                                        ; implicit-def: $vgpr44_vgpr45
	s_waitcnt lgkmcnt(0)
	v_mad_u64_u32 v[2:3], s[0:1], s6, v10, v[2:3]
	v_mul_lo_u32 v1, s6, v11
	v_mul_lo_u32 v5, s7, v10
	s_mov_b32 s0, 0xf0f0f10
	v_add3_u32 v3, v5, v3, v1
	v_mul_hi_u32 v1, v0, s0
	v_mul_u32_u24_e32 v1, 17, v1
	v_sub_u32_e32 v234, v0, v1
	v_lshl_add_u64 v[0:1], v[2:3], 4, s[8:9]
	v_accvgpr_write_b32 a0, v0
	v_cmp_gt_u64_e32 vcc, s[10:11], v[10:11]
	v_accvgpr_write_b32 a1, v1
                                        ; implicit-def: $vgpr2_vgpr3
	s_and_saveexec_b64 s[2:3], vcc
	s_cbranch_execz .LBB0_10
; %bb.9:
	v_accvgpr_read_b32 v15, a1
	v_mov_b32_e32 v235, 0
	v_accvgpr_read_b32 v14, a0
	v_lshl_add_u64 v[6:7], v[234:235], 4, v[14:15]
	s_movk_i32 s0, 0x1000
	v_add_co_u32_e64 v8, s[0:1], s0, v6
	v_or_b32_e32 v12, 0x220, v234
	s_nop 0
	v_addc_co_u32_e64 v9, s[0:1], 0, v7, s[0:1]
	s_movk_i32 s0, 0x2000
	v_mov_b32_e32 v13, v235
	v_add_co_u32_e64 v10, s[0:1], s0, v6
	v_lshl_add_u64 v[12:13], v[12:13], 4, v[14:15]
	global_load_dwordx4 v[42:45], v[6:7], off
	global_load_dwordx4 v[0:3], v[6:7], off offset:272
	global_load_dwordx4 v[66:69], v[6:7], off offset:2720
	global_load_dwordx4 v[38:41], v[6:7], off offset:2992
	v_addc_co_u32_e64 v11, s[0:1], 0, v7, s[0:1]
	global_load_dwordx4 v[70:73], v[6:7], off offset:1632
	global_load_dwordx4 v[46:49], v[6:7], off offset:1904
	global_load_dwordx4 v[78:81], v[12:13], off
	global_load_dwordx4 v[74:77], v[6:7], off offset:544
	global_load_dwordx4 v[30:33], v[6:7], off offset:816
	;; [unrolled: 1-line block ×14, first 2 shown]
                                        ; kill: killed $vgpr6 killed $vgpr7
                                        ; kill: killed $vgpr12_vgpr13
	global_load_dwordx4 v[142:145], v[8:9], off offset:2976
	global_load_dwordx4 v[122:125], v[8:9], off offset:3248
	;; [unrolled: 1-line block ×14, first 2 shown]
.LBB0_10:
	s_or_b64 exec, exec, s[2:3]
	s_mov_b32 s0, 0xaaaaaaab
	v_mul_hi_u32 v5, v4, s0
	v_lshrrev_b32_e32 v5, 1, v5
	v_lshl_add_u32 v5, v5, 1, v5
	v_sub_u32_e32 v4, v4, v5
	v_mul_u32_u24_e32 v24, 0x253, v4
	s_waitcnt vmcnt(3)
	v_add_f64 v[4:5], v[202:203], v[134:135]
	v_add_f64 v[8:9], v[190:191], v[66:67]
	v_add_f64 v[10:11], v[68:69], -v[192:193]
	v_add_f64 v[12:13], v[174:175], v[170:171]
	v_add_f64 v[14:15], v[176:177], -v[172:173]
	;; [unrolled: 2-line block ×3, first 2 shown]
	v_add_f64 v[18:19], v[8:9], -v[4:5]
	v_add_f64 v[4:5], v[4:5], -v[12:13]
	;; [unrolled: 1-line block ×3, first 2 shown]
	v_add_f64 v[20:21], v[14:15], v[10:11]
	v_add_f64 v[12:13], v[12:13], v[16:17]
	v_add_f64 v[22:23], v[14:15], -v[10:11]
	v_add_f64 v[14:15], v[6:7], -v[14:15]
	;; [unrolled: 1-line block ×3, first 2 shown]
	v_add_f64 v[16:17], v[20:21], v[6:7]
	v_add_f64 v[6:7], v[42:43], v[12:13]
	s_mov_b32 s2, 0x37e14327
	s_mov_b32 s6, 0x36b3c0b5
	;; [unrolled: 1-line block ×7, first 2 shown]
	v_mov_b64_e32 v[20:21], v[6:7]
	s_mov_b32 s13, 0x3fe11646
	s_mov_b32 s10, 0x429ad128
	;; [unrolled: 1-line block ×4, first 2 shown]
	v_mul_f64 v[4:5], v[4:5], s[2:3]
	v_fmac_f64_e32 v[20:21], s[8:9], v[12:13]
	v_mul_f64 v[12:13], v[8:9], s[6:7]
	v_mul_f64 v[22:23], v[22:23], s[12:13]
	s_mov_b32 s11, 0xbfebfeb5
	s_mov_b32 s15, 0x3fe77f67
	;; [unrolled: 1-line block ×6, first 2 shown]
	v_fma_f64 v[12:13], v[18:19], s[14:15], -v[12:13]
	v_fma_f64 v[18:19], v[18:19], s[16:17], -v[4:5]
	v_fmac_f64_e32 v[4:5], s[6:7], v[8:9]
	v_mul_f64 v[8:9], v[10:11], s[10:11]
	v_fma_f64 v[10:11], v[10:11], s[10:11], -v[22:23]
	v_fmac_f64_e32 v[22:23], s[18:19], v[14:15]
	s_mov_b32 s23, 0x3fd5d0dc
	s_mov_b32 s22, s18
	s_mov_b32 s21, 0xbfdc38aa
	v_lshlrev_b32_e32 v26, 3, v24
	v_fma_f64 v[8:9], v[14:15], s[22:23], -v[8:9]
	v_add_f64 v[4:5], v[4:5], v[20:21]
	v_fmac_f64_e32 v[22:23], s[20:21], v[16:17]
	v_add_u32_e32 v235, 0, v26
	v_add_f64 v[14:15], v[12:13], v[20:21]
	v_add_f64 v[18:19], v[18:19], v[20:21]
	v_fmac_f64_e32 v[10:11], s[20:21], v[16:17]
	v_fmac_f64_e32 v[8:9], s[20:21], v[16:17]
	v_add_f64 v[16:17], v[22:23], v[4:5]
	v_mad_u32_u24 v42, v234, 56, v235
	v_add_f64 v[12:13], v[8:9], v[18:19]
	v_add_f64 v[20:21], v[14:15], -v[10:11]
	v_add_f64 v[10:11], v[10:11], v[14:15]
	v_add_f64 v[14:15], v[18:19], -v[8:9]
	s_waitcnt vmcnt(2)
	v_add_f64 v[18:19], v[154:155], v[70:71]
	ds_write2_b64 v42, v[6:7], v[16:17] offset1:1
	v_add_f64 v[6:7], v[142:143], v[38:39]
	ds_write2_b64 v42, v[12:13], v[20:21] offset0:2 offset1:3
	v_add_f64 v[12:13], v[130:131], v[138:139]
	ds_write2_b64 v42, v[10:11], v[14:15] offset0:4 offset1:5
	v_add_f64 v[10:11], v[6:7], v[18:19]
	v_add_f64 v[16:17], v[40:41], -v[144:145]
	v_add_f64 v[20:21], v[132:133], -v[140:141]
	v_add_f64 v[10:11], v[12:13], v[10:11]
	v_add_f64 v[8:9], v[72:73], -v[156:157]
	v_add_f64 v[14:15], v[6:7], -v[18:19]
	;; [unrolled: 1-line block ×4, first 2 shown]
	v_add_f64 v[12:13], v[20:21], v[16:17]
	v_add_f64 v[0:1], v[0:1], v[10:11]
	v_add_f64 v[4:5], v[4:5], -v[22:23]
	v_add_f64 v[22:23], v[20:21], -v[16:17]
	;; [unrolled: 1-line block ×4, first 2 shown]
	v_add_f64 v[8:9], v[12:13], v[8:9]
	v_mov_b64_e32 v[12:13], v[0:1]
	v_fmac_f64_e32 v[12:13], s[8:9], v[10:11]
	v_mul_f64 v[10:11], v[18:19], s[2:3]
	v_mul_f64 v[18:19], v[6:7], s[6:7]
	v_fma_f64 v[18:19], v[14:15], s[14:15], -v[18:19]
	v_fma_f64 v[14:15], v[14:15], s[16:17], -v[10:11]
	v_fmac_f64_e32 v[10:11], s[6:7], v[6:7]
	v_mul_f64 v[6:7], v[22:23], s[12:13]
	v_mul_f64 v[22:23], v[16:17], s[10:11]
	v_fma_f64 v[16:17], v[16:17], s[10:11], -v[6:7]
	v_fmac_f64_e32 v[6:7], s[18:19], v[20:21]
	v_fma_f64 v[20:21], v[20:21], s[22:23], -v[22:23]
	v_add_f64 v[10:11], v[10:11], v[12:13]
	v_add_f64 v[18:19], v[18:19], v[12:13]
	v_fmac_f64_e32 v[6:7], s[20:21], v[8:9]
	v_fmac_f64_e32 v[16:17], s[20:21], v[8:9]
	v_add_f64 v[12:13], v[14:15], v[12:13]
	v_fmac_f64_e32 v[20:21], s[20:21], v[8:9]
	v_add_f64 v[8:9], v[18:19], -v[16:17]
	v_add_f64 v[14:15], v[16:17], v[18:19]
	v_add_f64 v[18:19], v[6:7], v[10:11]
	;; [unrolled: 1-line block ×3, first 2 shown]
	v_add_f64 v[12:13], v[12:13], -v[20:21]
	v_add_f64 v[6:7], v[10:11], -v[6:7]
	v_add_f64 v[10:11], v[78:79], v[46:47]
	ds_write2_b64 v42, v[0:1], v[18:19] offset0:119 offset1:120
	v_add_f64 v[18:19], v[122:123], v[90:91]
	ds_write2_b64 v42, v[16:17], v[8:9] offset0:121 offset1:122
	;; [unrolled: 2-line block ×3, first 2 shown]
	v_add_f64 v[12:13], v[18:19], v[10:11]
	v_add_f64 v[8:9], v[92:93], -v[124:125]
	v_add_f64 v[14:15], v[18:19], -v[10:11]
	;; [unrolled: 1-line block ×4, first 2 shown]
	v_add_f64 v[12:13], v[16:17], v[12:13]
	v_add_f64 v[16:17], v[128:129], -v[120:121]
	v_add_f64 v[0:1], v[48:49], -v[80:81]
	v_add_f64 v[20:21], v[16:17], v[8:9]
	v_add_f64 v[22:23], v[16:17], -v[8:9]
	v_add_f64 v[16:17], v[0:1], -v[16:17]
	;; [unrolled: 1-line block ×3, first 2 shown]
	v_add_f64 v[0:1], v[20:21], v[0:1]
	v_add_f64 v[20:21], v[74:75], v[12:13]
	v_mov_b64_e32 v[24:25], v[20:21]
	v_fmac_f64_e32 v[24:25], s[8:9], v[12:13]
	v_mul_f64 v[10:11], v[10:11], s[2:3]
	v_mul_f64 v[12:13], v[18:19], s[6:7]
	v_fma_f64 v[12:13], v[14:15], s[14:15], -v[12:13]
	v_fma_f64 v[14:15], v[14:15], s[16:17], -v[10:11]
	v_fmac_f64_e32 v[10:11], s[6:7], v[18:19]
	v_mul_f64 v[18:19], v[22:23], s[12:13]
	v_mul_f64 v[22:23], v[8:9], s[10:11]
	v_fma_f64 v[8:9], v[8:9], s[10:11], -v[18:19]
	v_fmac_f64_e32 v[18:19], s[18:19], v[16:17]
	v_fma_f64 v[16:17], v[16:17], s[22:23], -v[22:23]
	v_add_f64 v[10:11], v[10:11], v[24:25]
	v_add_f64 v[12:13], v[12:13], v[24:25]
	;; [unrolled: 1-line block ×3, first 2 shown]
	v_fmac_f64_e32 v[18:19], s[20:21], v[0:1]
	v_fmac_f64_e32 v[8:9], s[20:21], v[0:1]
	;; [unrolled: 1-line block ×3, first 2 shown]
	v_add_f64 v[0:1], v[12:13], -v[8:9]
	v_add_f64 v[8:9], v[8:9], v[12:13]
	v_add_f64 v[12:13], v[16:17], v[14:15]
	v_add_f64 v[14:15], v[14:15], -v[16:17]
	v_add_f64 v[16:17], v[18:19], v[10:11]
	ds_write2_b64 v42, v[4:5], v[6:7] offset0:6 offset1:125
	s_waitcnt vmcnt(1)
	v_add_f64 v[4:5], v[114:115], v[94:95]
	ds_write2_b64 v42, v[20:21], v[16:17] offset0:238 offset1:239
	v_add_f64 v[16:17], v[110:111], v[50:51]
	v_add_f64 v[10:11], v[10:11], -v[18:19]
	v_add_f64 v[18:19], v[52:53], -v[112:113]
	ds_write2_b64 v42, v[12:13], v[0:1] offset0:240 offset1:241
	v_add_f64 v[0:1], v[102:103], v[106:107]
	v_add_f64 v[12:13], v[104:105], -v[108:109]
	ds_write2_b64 v42, v[8:9], v[14:15] offset0:242 offset1:243
	v_add_f64 v[8:9], v[16:17], v[4:5]
	v_add_f64 v[6:7], v[96:97], -v[116:117]
	v_add_f64 v[14:15], v[16:17], -v[4:5]
	;; [unrolled: 1-line block ×4, first 2 shown]
	v_add_f64 v[0:1], v[0:1], v[8:9]
	v_add_f64 v[8:9], v[12:13], v[18:19]
	v_add_f64 v[20:21], v[12:13], -v[18:19]
	v_add_f64 v[12:13], v[6:7], -v[12:13]
	;; [unrolled: 1-line block ×3, first 2 shown]
	v_add_f64 v[6:7], v[8:9], v[6:7]
	v_add_f64 v[8:9], v[30:31], v[0:1]
	v_mov_b64_e32 v[22:23], v[8:9]
	v_fmac_f64_e32 v[22:23], s[8:9], v[0:1]
	v_mul_f64 v[0:1], v[4:5], s[2:3]
	v_mul_f64 v[4:5], v[16:17], s[6:7]
	v_fma_f64 v[4:5], v[14:15], s[14:15], -v[4:5]
	v_fma_f64 v[14:15], v[14:15], s[16:17], -v[0:1]
	v_fmac_f64_e32 v[0:1], s[6:7], v[16:17]
	v_mul_f64 v[16:17], v[20:21], s[12:13]
	v_mul_f64 v[20:21], v[18:19], s[10:11]
	v_fma_f64 v[18:19], v[18:19], s[10:11], -v[16:17]
	v_fmac_f64_e32 v[16:17], s[18:19], v[12:13]
	v_fma_f64 v[12:13], v[12:13], s[22:23], -v[20:21]
	v_add_f64 v[4:5], v[4:5], v[22:23]
	v_add_f64 v[14:15], v[14:15], v[22:23]
	v_fmac_f64_e32 v[18:19], s[20:21], v[6:7]
	v_fmac_f64_e32 v[12:13], s[20:21], v[6:7]
	;; [unrolled: 1-line block ×3, first 2 shown]
	v_add_f64 v[6:7], v[4:5], -v[18:19]
	v_add_f64 v[4:5], v[18:19], v[4:5]
	v_add_f64 v[18:19], v[12:13], v[14:15]
	v_add_u32_e32 v20, 0xb38, v42
	v_add_f64 v[0:1], v[0:1], v[22:23]
	v_add_f64 v[12:13], v[14:15], -v[12:13]
	ds_write2_b64 v20, v[18:19], v[6:7] offset1:1
	v_add_u32_e32 v20, 0xb48, v42
	v_add_f64 v[14:15], v[16:17], v[0:1]
	v_add_f64 v[0:1], v[0:1], -v[16:17]
	s_waitcnt vmcnt(0)
	v_add_f64 v[16:17], v[98:99], v[54:55]
	v_add_f64 v[18:19], v[86:87], v[58:59]
	ds_write2_b64 v20, v[4:5], v[12:13] offset1:1
	v_add_u32_e32 v20, 0x400, v42
	v_add_f64 v[12:13], v[82:83], v[62:63]
	ds_write2_b64 v20, v[10:11], v[0:1] offset0:116 offset1:235
	v_add_f64 v[0:1], v[18:19], v[16:17]
	v_add_f64 v[4:5], v[60:61], -v[88:89]
	v_add_f64 v[10:11], v[18:19], -v[16:17]
	;; [unrolled: 1-line block ×4, first 2 shown]
	v_add_f64 v[0:1], v[12:13], v[0:1]
	v_add_f64 v[12:13], v[84:85], -v[64:65]
	v_add_f64 v[6:7], v[56:57], -v[100:101]
	v_add_f64 v[20:21], v[12:13], v[4:5]
	v_add_f64 v[22:23], v[12:13], -v[4:5]
	v_add_f64 v[12:13], v[6:7], -v[12:13]
	;; [unrolled: 1-line block ×3, first 2 shown]
	v_add_f64 v[6:7], v[20:21], v[6:7]
	v_mul_f64 v[16:17], v[16:17], s[2:3]
	v_mul_f64 v[20:21], v[18:19], s[6:7]
	v_fma_f64 v[20:21], v[10:11], s[14:15], -v[20:21]
	v_fma_f64 v[10:11], v[10:11], s[16:17], -v[16:17]
	v_fmac_f64_e32 v[16:17], s[6:7], v[18:19]
	v_mul_f64 v[18:19], v[22:23], s[12:13]
	v_mul_f64 v[22:23], v[4:5], s[10:11]
	v_fma_f64 v[4:5], v[4:5], s[10:11], -v[18:19]
	v_fmac_f64_e32 v[18:19], s[18:19], v[12:13]
	v_fma_f64 v[12:13], v[12:13], s[22:23], -v[22:23]
	v_add_f64 v[22:23], v[34:35], v[0:1]
	v_fma_f64 v[0:1], s[8:9], v[0:1], v[22:23]
	v_add_f64 v[16:17], v[16:17], v[0:1]
	v_add_f64 v[20:21], v[20:21], v[0:1]
	;; [unrolled: 1-line block ×3, first 2 shown]
	v_fmac_f64_e32 v[18:19], s[20:21], v[6:7]
	v_fmac_f64_e32 v[12:13], s[20:21], v[6:7]
	v_add_u32_e32 v34, 0xb28, v42
	v_fmac_f64_e32 v[4:5], s[20:21], v[6:7]
	v_add_f64 v[10:11], v[12:13], v[0:1]
	v_add_f64 v[0:1], v[0:1], -v[12:13]
	v_add_f64 v[12:13], v[18:19], v[16:17]
	ds_write2_b64 v34, v[8:9], v[14:15] offset1:1
	ds_write_b64 v42, v[22:23] offset:3808
	v_add_u32_e32 v8, 0xee8, v42
	v_add_f64 v[6:7], v[20:21], -v[4:5]
	v_add_f64 v[4:5], v[4:5], v[20:21]
	ds_write2_b64 v8, v[12:13], v[10:11] offset1:1
	v_add_u32_e32 v8, 0xef8, v42
	v_add_f64 v[162:163], v[16:17], -v[18:19]
	ds_write2_b64 v8, v[6:7], v[4:5] offset1:1
	v_add_u32_e32 v4, 0xf08, v42
	ds_write2_b64 v4, v[0:1], v[162:163] offset1:1
	v_lshlrev_b32_e32 v0, 3, v234
	v_add_u32_e32 v1, v235, v0
	v_add3_u32 v236, 0, v0, v26
	s_waitcnt lgkmcnt(0)
	; wave barrier
	s_waitcnt lgkmcnt(0)
	ds_read2_b64 v[4:7], v236 offset0:17 offset1:35
	v_add_u32_e32 v35, 0x800, v236
	v_add_u32_e32 v43, 0xc00, v236
	;; [unrolled: 1-line block ×3, first 2 shown]
	ds_read_b64 v[250:251], v1
	ds_read_b64 v[246:247], v236 offset:4616
	ds_read2_b64 v[230:233], v236 offset0:52 offset1:70
	ds_read2_b64 v[226:229], v236 offset0:87 offset1:105
	;; [unrolled: 1-line block ×15, first 2 shown]
	v_accvgpr_write_b32 a3, v26
	v_mov_b32_e32 v239, v1
	v_add_u32_e32 v238, 0x3b8, v42
	v_add_u32_e32 v75, 0x770, v42
	;; [unrolled: 1-line block ×3, first 2 shown]
	v_cmp_eq_u32_e64 s[0:1], 0, v234
                                        ; implicit-def: $vgpr248_vgpr249
                                        ; implicit-def: $vgpr10_vgpr11
                                        ; implicit-def: $vgpr14_vgpr15
                                        ; implicit-def: $vgpr18_vgpr19
                                        ; implicit-def: $vgpr22_vgpr23
                                        ; implicit-def: $vgpr26_vgpr27
                                        ; implicit-def: $vgpr30_vgpr31
                                        ; implicit-def: $vgpr152_vgpr153
                                        ; implicit-def: $vgpr164_vgpr165
	s_and_saveexec_b64 s[24:25], s[0:1]
	s_cbranch_execz .LBB0_12
; %bb.11:
	v_add_u32_e32 v0, 0x400, v235
	ds_read2_b64 v[162:165], v235 offset0:34 offset1:69
	ds_read2_b64 v[150:153], v235 offset0:104 offset1:139
	;; [unrolled: 1-line block ×4, first 2 shown]
	v_add_u32_e32 v0, 0x800, v235
	ds_read2_b64 v[20:23], v0 offset0:58 offset1:93
	ds_read2_b64 v[16:19], v0 offset0:128 offset1:163
	;; [unrolled: 1-line block ×3, first 2 shown]
	v_add_u32_e32 v0, 0x1000, v235
	ds_read2_b64 v[8:11], v0 offset0:12 offset1:47
	ds_read_b64 v[248:249], v235 offset:4752
.LBB0_12:
	s_or_b64 exec, exec, s[24:25]
	v_add_f64 v[48:49], v[80:81], v[48:49]
	v_add_f64 v[46:47], v[46:47], -v[78:79]
	v_add_f64 v[78:79], v[124:125], v[92:93]
	v_add_f64 v[0:1], v[204:205], v[136:137]
	;; [unrolled: 1-line block ×3, first 2 shown]
	v_add_f64 v[80:81], v[90:91], -v[122:123]
	v_add_f64 v[90:91], v[128:129], v[120:121]
	v_add_f64 v[92:93], v[126:127], -v[118:119]
	v_add_f64 v[118:119], v[78:79], v[48:49]
	;; [unrolled: 2-line block ×4, first 2 shown]
	v_add_f64 v[120:121], v[78:79], -v[48:49]
	v_add_f64 v[48:49], v[48:49], -v[90:91]
	v_add_f64 v[78:79], v[90:91], -v[78:79]
	v_add_f64 v[90:91], v[90:91], v[118:119]
	v_add_f64 v[134:135], v[134:135], -v[202:203]
	v_add_f64 v[174:175], v[68:69], -v[0:1]
	;; [unrolled: 1-line block ×4, first 2 shown]
	v_add_f64 v[0:1], v[170:171], v[66:67]
	v_add_f64 v[136:137], v[136:137], v[172:173]
	v_add_f64 v[122:123], v[92:93], v[80:81]
	v_add_f64 v[124:125], v[92:93], -v[80:81]
	v_add_f64 v[76:77], v[76:77], v[90:91]
	v_add_f64 v[190:191], v[170:171], -v[66:67]
	v_add_f64 v[170:171], v[134:135], -v[170:171]
	;; [unrolled: 1-line block ×3, first 2 shown]
	v_add_f64 v[134:135], v[0:1], v[134:135]
	v_add_f64 v[0:1], v[44:45], v[136:137]
	v_add_f64 v[92:93], v[46:47], -v[92:93]
	v_add_f64 v[80:81], v[80:81], -v[46:47]
	v_add_f64 v[46:47], v[122:123], v[46:47]
	v_mul_f64 v[48:49], v[48:49], s[2:3]
	v_mul_f64 v[118:119], v[78:79], s[6:7]
	;; [unrolled: 1-line block ×3, first 2 shown]
	v_mov_b64_e32 v[126:127], v[76:77]
	v_mul_f64 v[44:45], v[176:177], s[2:3]
	v_mul_f64 v[172:173], v[68:69], s[6:7]
	;; [unrolled: 1-line block ×3, first 2 shown]
	v_mov_b64_e32 v[192:193], v[0:1]
	v_mul_f64 v[124:125], v[80:81], s[10:11]
	v_fmac_f64_e32 v[126:127], s[8:9], v[90:91]
	v_fma_f64 v[90:91], v[120:121], s[14:15], -v[118:119]
	v_fma_f64 v[118:119], v[120:121], s[16:17], -v[48:49]
	v_fmac_f64_e32 v[48:49], s[6:7], v[78:79]
	v_fma_f64 v[78:79], v[80:81], s[10:11], -v[122:123]
	v_mul_f64 v[190:191], v[66:67], s[10:11]
	v_fmac_f64_e32 v[192:193], s[8:9], v[136:137]
	v_fma_f64 v[136:137], v[174:175], s[14:15], -v[172:173]
	v_fma_f64 v[66:67], v[66:67], s[10:11], -v[176:177]
	v_fma_f64 v[80:81], v[92:93], s[22:23], -v[124:125]
	v_add_f64 v[90:91], v[90:91], v[126:127]
	v_fmac_f64_e32 v[78:79], s[20:21], v[46:47]
	v_add_f64 v[136:137], v[136:137], v[192:193]
	v_fmac_f64_e32 v[66:67], s[20:21], v[134:135]
	v_add_f64 v[72:73], v[156:157], v[72:73]
	v_add_f64 v[40:41], v[144:145], v[40:41]
	v_fmac_f64_e32 v[122:123], s[18:19], v[92:93]
	v_add_f64 v[92:93], v[118:119], v[126:127]
	v_fmac_f64_e32 v[80:81], s[20:21], v[46:47]
	v_add_f64 v[120:121], v[78:79], v[90:91]
	v_add_f64 v[78:79], v[90:91], -v[78:79]
	v_add_f64 v[90:91], v[116:117], v[96:97]
	v_add_f64 v[52:53], v[112:113], v[52:53]
	v_fma_f64 v[172:173], v[174:175], s[16:17], -v[44:45]
	v_add_f64 v[174:175], v[66:67], v[136:137]
	v_add_f64 v[66:67], v[136:137], -v[66:67]
	v_add_f64 v[132:133], v[132:133], v[140:141]
	v_add_f64 v[136:137], v[40:41], v[72:73]
	v_add_f64 v[118:119], v[92:93], -v[80:81]
	v_add_f64 v[80:81], v[80:81], v[92:93]
	v_add_f64 v[92:93], v[94:95], -v[114:115]
	;; [unrolled: 2-line block ×3, first 2 shown]
	v_add_f64 v[102:103], v[52:53], v[90:91]
	v_add_f64 v[56:57], v[100:101], v[56:57]
	;; [unrolled: 1-line block ×3, first 2 shown]
	v_add_f64 v[38:39], v[38:39], -v[142:143]
	v_add_f64 v[130:131], v[130:131], -v[138:139]
	;; [unrolled: 1-line block ×5, first 2 shown]
	v_add_f64 v[132:133], v[132:133], v[136:137]
	v_add_f64 v[50:51], v[50:51], -v[110:111]
	v_add_f64 v[104:105], v[52:53], -v[90:91]
	;; [unrolled: 1-line block ×4, first 2 shown]
	v_add_f64 v[94:95], v[94:95], v[102:103]
	v_add_f64 v[54:55], v[54:55], -v[98:99]
	v_add_f64 v[58:59], v[58:59], -v[86:87]
	v_add_f64 v[64:65], v[84:85], v[64:65]
	v_add_f64 v[62:63], v[82:83], -v[62:63]
	v_add_f64 v[82:83], v[60:61], v[56:57]
	;; [unrolled: 2-line block ×4, first 2 shown]
	v_add_f64 v[106:107], v[96:97], v[50:51]
	v_add_f64 v[108:109], v[96:97], -v[50:51]
	v_add_f64 v[50:51], v[50:51], -v[92:93]
	v_add_f64 v[32:33], v[32:33], v[94:95]
	v_add_f64 v[84:85], v[60:61], -v[56:57]
	v_add_f64 v[56:57], v[56:57], -v[64:65]
	;; [unrolled: 1-line block ×3, first 2 shown]
	v_add_f64 v[86:87], v[62:63], v[58:59]
	v_add_f64 v[88:89], v[62:63], -v[58:59]
	v_add_f64 v[58:59], v[58:59], -v[54:55]
	v_add_f64 v[64:65], v[64:65], v[82:83]
	v_add_f64 v[130:131], v[70:71], -v[130:131]
	v_add_f64 v[38:39], v[38:39], -v[70:71]
	v_add_f64 v[70:71], v[140:141], v[70:71]
	v_mul_f64 v[72:73], v[72:73], s[2:3]
	v_mul_f64 v[136:137], v[40:41], s[6:7]
	;; [unrolled: 1-line block ×3, first 2 shown]
	v_mov_b64_e32 v[144:145], v[2:3]
	v_add_f64 v[96:97], v[92:93], -v[96:97]
	v_add_f64 v[92:93], v[106:107], v[92:93]
	v_mul_f64 v[90:91], v[90:91], s[2:3]
	v_mul_f64 v[102:103], v[52:53], s[6:7]
	;; [unrolled: 1-line block ×4, first 2 shown]
	v_mov_b64_e32 v[110:111], v[32:33]
	v_add_f64 v[62:63], v[54:55], -v[62:63]
	v_add_f64 v[54:55], v[86:87], v[54:55]
	v_add_f64 v[36:37], v[36:37], v[64:65]
	v_mul_f64 v[56:57], v[56:57], s[2:3]
	v_mul_f64 v[82:83], v[60:61], s[6:7]
	;; [unrolled: 1-line block ×4, first 2 shown]
	v_fmac_f64_e32 v[44:45], s[6:7], v[68:69]
	v_fmac_f64_e32 v[176:177], s[18:19], v[170:171]
	v_fma_f64 v[68:69], v[170:171], s[22:23], -v[190:191]
	v_mul_f64 v[142:143], v[38:39], s[10:11]
	v_fmac_f64_e32 v[144:145], s[8:9], v[132:133]
	v_fma_f64 v[132:133], v[138:139], s[14:15], -v[136:137]
	v_fma_f64 v[136:137], v[138:139], s[16:17], -v[72:73]
	v_fmac_f64_e32 v[72:73], s[6:7], v[40:41]
	v_fma_f64 v[38:39], v[38:39], s[10:11], -v[140:141]
	v_fmac_f64_e32 v[140:141], s[18:19], v[130:131]
	v_fmac_f64_e32 v[110:111], s[8:9], v[94:95]
	v_fma_f64 v[94:95], v[104:105], s[14:15], -v[102:103]
	v_fma_f64 v[102:103], v[104:105], s[16:17], -v[90:91]
	v_fmac_f64_e32 v[90:91], s[6:7], v[52:53]
	v_fma_f64 v[50:51], v[50:51], s[10:11], -v[106:107]
	v_fmac_f64_e32 v[106:107], s[18:19], v[96:97]
	v_fma_f64 v[52:53], v[96:97], s[22:23], -v[108:109]
	v_fma_f64 v[64:65], s[8:9], v[64:65], v[36:37]
	v_fma_f64 v[82:83], v[84:85], s[14:15], -v[82:83]
	v_fma_f64 v[84:85], v[84:85], s[16:17], -v[56:57]
	v_fmac_f64_e32 v[56:57], s[6:7], v[60:61]
	v_fma_f64 v[58:59], v[58:59], s[10:11], -v[86:87]
	v_fma_f64 v[60:61], v[62:63], s[22:23], -v[88:89]
	v_add_f64 v[44:45], v[44:45], v[192:193]
	v_add_f64 v[170:171], v[172:173], v[192:193]
	v_fmac_f64_e32 v[176:177], s[20:21], v[134:135]
	v_fmac_f64_e32 v[68:69], s[20:21], v[134:135]
	v_fma_f64 v[40:41], v[130:131], s[22:23], -v[142:143]
	v_add_f64 v[72:73], v[72:73], v[144:145]
	v_fmac_f64_e32 v[140:141], s[20:21], v[70:71]
	v_add_f64 v[90:91], v[90:91], v[110:111]
	v_add_f64 v[94:95], v[94:95], v[110:111]
	v_add_f64 v[96:97], v[102:103], v[110:111]
	v_fmac_f64_e32 v[106:107], s[20:21], v[92:93]
	v_fmac_f64_e32 v[50:51], s[20:21], v[92:93]
	;; [unrolled: 1-line block ×4, first 2 shown]
	v_add_f64 v[56:57], v[56:57], v[64:65]
	v_add_f64 v[62:63], v[82:83], v[64:65]
	;; [unrolled: 1-line block ×3, first 2 shown]
	v_fmac_f64_e32 v[58:59], s[20:21], v[54:55]
	v_fmac_f64_e32 v[60:61], s[20:21], v[54:55]
	v_add_f64 v[134:135], v[44:45], -v[176:177]
	v_add_f64 v[172:173], v[170:171], -v[68:69]
	v_add_f64 v[68:69], v[68:69], v[170:171]
	v_add_f64 v[130:131], v[132:133], v[144:145]
	;; [unrolled: 1-line block ×3, first 2 shown]
	v_fmac_f64_e32 v[38:39], s[20:21], v[70:71]
	v_fmac_f64_e32 v[40:41], s[20:21], v[70:71]
	v_add_f64 v[70:71], v[72:73], -v[140:141]
	v_add_f64 v[72:73], v[140:141], v[72:73]
	v_add_f64 v[48:49], v[48:49], v[126:127]
	v_fmac_f64_e32 v[122:123], s[20:21], v[46:47]
	v_add_f64 v[92:93], v[90:91], -v[106:107]
	v_add_f64 v[102:103], v[96:97], -v[52:53]
	v_add_f64 v[104:105], v[50:51], v[94:95]
	v_add_f64 v[90:91], v[106:107], v[90:91]
	v_fmac_f64_e32 v[86:87], s[20:21], v[54:55]
	v_add_f64 v[82:83], v[64:65], -v[60:61]
	v_add_f64 v[84:85], v[58:59], v[62:63]
	v_add_f64 v[58:59], v[62:63], -v[58:59]
	v_add_f64 v[60:61], v[60:61], v[64:65]
	v_add_f64 v[44:45], v[176:177], v[44:45]
	v_add_f64 v[136:137], v[132:133], -v[40:41]
	v_add_f64 v[138:139], v[38:39], v[130:131]
	v_add_f64 v[38:39], v[130:131], -v[38:39]
	;; [unrolled: 2-line block ×5, first 2 shown]
	v_add_f64 v[124:125], v[86:87], v[56:57]
	s_waitcnt lgkmcnt(0)
	; wave barrier
	s_waitcnt lgkmcnt(0)
	ds_write2_b64 v42, v[0:1], v[134:135] offset1:1
	ds_write2_b64 v42, v[172:173], v[174:175] offset0:2 offset1:3
	ds_write2_b64 v42, v[66:67], v[68:69] offset0:4 offset1:5
	ds_write_b64 v42, v[44:45] offset:48
	ds_write2_b64 v238, v[2:3], v[70:71] offset1:1
	ds_write2_b64 v238, v[136:137], v[138:139] offset0:2 offset1:3
	ds_write2_b64 v238, v[38:39], v[40:41] offset0:4 offset1:5
	ds_write_b64 v238, v[72:73] offset:48
	;; [unrolled: 4-line block ×4, first 2 shown]
	ds_write_b64 v74, v[36:37]
	ds_write2_b64 v74, v[54:55], v[82:83] offset0:1 offset1:2
	ds_write2_b64 v74, v[84:85], v[58:59] offset0:3 offset1:4
	;; [unrolled: 1-line block ×3, first 2 shown]
	s_waitcnt lgkmcnt(0)
	; wave barrier
	s_waitcnt lgkmcnt(0)
	ds_read2_b64 v[0:3], v236 offset0:17 offset1:35
	ds_read2_b64 v[120:123], v236 offset0:52 offset1:70
	;; [unrolled: 1-line block ×16, first 2 shown]
	ds_read_b64 v[172:173], v239
	ds_read_b64 v[254:255], v236 offset:4616
	v_accvgpr_write_b32 a52, v239
                                        ; implicit-def: $vgpr252_vgpr253
                                        ; implicit-def: $vgpr34_vgpr35
                                        ; implicit-def: $vgpr38_vgpr39
                                        ; implicit-def: $vgpr42_vgpr43
                                        ; implicit-def: $vgpr46_vgpr47
                                        ; implicit-def: $vgpr50_vgpr51
                                        ; implicit-def: $vgpr54_vgpr55
                                        ; implicit-def: $vgpr86_vgpr87
                                        ; implicit-def: $vgpr66_vgpr67
	s_and_saveexec_b64 s[2:3], s[0:1]
	s_cbranch_execz .LBB0_14
; %bb.13:
	v_add_u32_e32 v32, 0x400, v235
	ds_read2_b64 v[64:67], v235 offset0:34 offset1:69
	ds_read2_b64 v[84:87], v235 offset0:104 offset1:139
	;; [unrolled: 1-line block ×4, first 2 shown]
	v_add_u32_e32 v32, 0x800, v235
	ds_read2_b64 v[44:47], v32 offset0:58 offset1:93
	ds_read2_b64 v[40:43], v32 offset0:128 offset1:163
	;; [unrolled: 1-line block ×3, first 2 shown]
	v_add_u32_e32 v32, 0x1000, v235
	ds_read2_b64 v[32:35], v32 offset0:12 offset1:47
	ds_read_b64 v[252:253], v235 offset:4752
	s_waitcnt lgkmcnt(8)
	v_mov_b64_e32 v[124:125], v[64:65]
.LBB0_14:
	s_or_b64 exec, exec, s[2:3]
	v_mov_b32_e32 v133, 37
	v_mul_lo_u16_sdwa v64, v234, v133 dst_sel:DWORD dst_unused:UNUSED_PAD src0_sel:BYTE_0 src1_sel:DWORD
	v_sub_u16_sdwa v65, v234, v64 dst_sel:DWORD dst_unused:UNUSED_PAD src0_sel:DWORD src1_sel:BYTE_1
	v_lshrrev_b16_e32 v65, 1, v65
	v_and_b32_e32 v65, 0x7f, v65
	v_add_u16_sdwa v64, v65, v64 dst_sel:DWORD dst_unused:UNUSED_PAD src0_sel:DWORD src1_sel:BYTE_1
	v_lshrrev_b16_e32 v175, 2, v64
	v_mul_lo_u16_e32 v64, 7, v175
	v_add_u32_e32 v126, 17, v234
	v_sub_u16_e32 v235, v234, v64
	v_mul_lo_u16_sdwa v64, v126, v133 dst_sel:DWORD dst_unused:UNUSED_PAD src0_sel:BYTE_0 src1_sel:DWORD
	v_sub_u16_sdwa v65, v126, v64 dst_sel:DWORD dst_unused:UNUSED_PAD src0_sel:DWORD src1_sel:BYTE_1
	v_mov_b32_e32 v244, 8
	v_lshrrev_b16_e32 v65, 1, v65
	v_lshlrev_b32_sdwa v132, v244, v235 dst_sel:DWORD dst_unused:UNUSED_PAD src0_sel:DWORD src1_sel:BYTE_0
	v_and_b32_e32 v65, 0x7f, v65
	global_load_dwordx4 v[134:137], v132, s[4:5] offset:16
	v_add_u16_sdwa v64, v65, v64 dst_sel:DWORD dst_unused:UNUSED_PAD src0_sel:DWORD src1_sel:BYTE_1
	v_lshrrev_b16_e32 v65, 2, v64
	v_mul_lo_u16_e32 v64, 7, v65
	v_sub_u16_e32 v237, v126, v64
	v_lshlrev_b32_sdwa v174, v244, v237 dst_sel:DWORD dst_unused:UNUSED_PAD src0_sel:DWORD src1_sel:BYTE_0
	global_load_dwordx4 v[138:141], v174, s[4:5]
	global_load_dwordx4 v[142:145], v132, s[4:5] offset:32
	global_load_dwordx4 v[154:157], v174, s[4:5] offset:16
	;; [unrolled: 1-line block ×4, first 2 shown]
	v_accvgpr_write_b32 a4, v65
	v_accvgpr_write_b32 a2, v126
	s_mov_b32 s2, 0x5d8e7cdc
	s_mov_b32 s3, 0xbfd71e95
	;; [unrolled: 1-line block ×48, first 2 shown]
	s_movk_i32 s33, 0x3b8
	global_load_dwordx4 v[240:243], v132, s[4:5] offset:80
	s_waitcnt vmcnt(6) lgkmcnt(14)
	v_mul_f64 v[238:239], v[122:123], v[136:137]
	v_mul_f64 v[64:65], v[232:233], v[136:137]
	v_fmac_f64_e32 v[238:239], v[232:233], v[134:135]
	v_fma_f64 v[128:129], v[122:123], v[134:135], -v[64:65]
	global_load_dwordx4 v[134:137], v132, s[4:5] offset:64
	s_waitcnt vmcnt(6)
	v_mul_f64 v[64:65], v[230:231], v[140:141]
	v_mul_f64 v[170:171], v[120:121], v[140:141]
	v_fma_f64 v[232:233], v[120:121], v[138:139], -v[64:65]
	global_load_dwordx4 v[120:123], v174, s[4:5] offset:48
	s_waitcnt vmcnt(6)
	v_mul_f64 v[64:65], v[228:229], v[144:145]
	v_fmac_f64_e32 v[170:171], v[230:231], v[138:139]
	v_mul_f64 v[230:231], v[118:119], v[144:145]
	v_fma_f64 v[140:141], v[118:119], v[142:143], -v[64:65]
	s_waitcnt vmcnt(5)
	v_mul_f64 v[64:65], v[226:227], v[156:157]
	v_fmac_f64_e32 v[230:231], v[228:229], v[142:143]
	v_mul_f64 v[142:143], v[116:117], v[156:157]
	v_fma_f64 v[228:229], v[116:117], v[154:155], -v[64:65]
	global_load_dwordx4 v[116:119], v174, s[4:5] offset:64
	s_waitcnt vmcnt(5)
	v_mul_f64 v[64:65], v[224:225], v[192:193]
	v_fmac_f64_e32 v[142:143], v[226:227], v[154:155]
	v_mul_f64 v[226:227], v[114:115], v[192:193]
	v_fma_f64 v[144:145], v[114:115], v[190:191], -v[64:65]
	global_load_dwordx4 v[154:157], v132, s[4:5] offset:96
	;; [unrolled: 6-line block ×3, first 2 shown]
	v_fmac_f64_e32 v[138:139], v[222:223], v[202:203]
	v_accvgpr_write_b32 a54, v140
	v_accvgpr_write_b32 a55, v141
	;; [unrolled: 1-line block ×12, first 2 shown]
	s_waitcnt vmcnt(4) lgkmcnt(13)
	v_mul_f64 v[222:223], v[110:111], v[136:137]
	v_mul_f64 v[64:65], v[220:221], v[136:137]
	v_fmac_f64_e32 v[222:223], v[220:221], v[134:135]
	v_fma_f64 v[204:205], v[110:111], v[134:135], -v[64:65]
	global_load_dwordx4 v[134:137], v132, s[4:5] offset:112
	s_waitcnt vmcnt(4)
	v_mul_f64 v[64:65], v[218:219], v[122:123]
	v_mul_f64 v[130:131], v[108:109], v[122:123]
	v_fma_f64 v[64:65], v[108:109], v[120:121], -v[64:65]
	global_load_dwordx4 v[108:111], v174, s[4:5] offset:96
	v_accvgpr_write_b32 a12, v64
	v_fmac_f64_e32 v[130:131], v[218:219], v[120:121]
	v_accvgpr_write_b32 a13, v65
	s_waitcnt lgkmcnt(12)
	v_mul_f64 v[218:219], v[106:107], v[242:243]
	v_mul_f64 v[64:65], v[216:217], v[242:243]
	v_fmac_f64_e32 v[218:219], v[216:217], v[240:241]
	v_fma_f64 v[122:123], v[106:107], v[240:241], -v[64:65]
	global_load_dwordx4 v[240:243], v132, s[4:5] offset:128
	s_waitcnt vmcnt(5)
	v_mul_f64 v[64:65], v[214:215], v[118:119]
	v_mul_f64 v[120:121], v[104:105], v[118:119]
	v_fma_f64 v[118:119], v[104:105], v[116:117], -v[64:65]
	global_load_dwordx4 v[104:107], v174, s[4:5] offset:112
	s_waitcnt vmcnt(5) lgkmcnt(11)
	v_mul_f64 v[202:203], v[102:103], v[156:157]
	v_mul_f64 v[64:65], v[212:213], v[156:157]
	v_fmac_f64_e32 v[120:121], v[214:215], v[116:117]
	v_fmac_f64_e32 v[202:203], v[212:213], v[154:155]
	v_fma_f64 v[220:221], v[102:103], v[154:155], -v[64:65]
	global_load_dwordx4 v[154:157], v132, s[4:5] offset:144
	s_waitcnt vmcnt(5)
	v_mul_f64 v[116:117], v[100:101], v[114:115]
	v_mul_f64 v[64:65], v[210:211], v[114:115]
	v_fmac_f64_e32 v[116:117], v[210:211], v[112:113]
	v_fma_f64 v[64:65], v[100:101], v[112:113], -v[64:65]
	global_load_dwordx4 v[112:115], v174, s[4:5] offset:128
	v_accvgpr_write_b32 a10, v64
	v_accvgpr_write_b32 a11, v65
	v_accvgpr_mov_b32 a19, a13
	v_accvgpr_write_b32 a46, v204
	v_accvgpr_write_b32 a44, v122
	v_accvgpr_write_b32 a40, v220
	v_accvgpr_mov_b32 a18, a12
	v_accvgpr_write_b32 a16, v118
	v_accvgpr_write_b32 a47, v205
	;; [unrolled: 1-line block ×5, first 2 shown]
	global_load_dwordx4 v[212:215], v132, s[4:5] offset:208
	s_waitcnt vmcnt(6)
	v_mul_f64 v[64:65], v[208:209], v[136:137]
	s_waitcnt lgkmcnt(10)
	v_mul_f64 v[176:177], v[98:99], v[136:137]
	v_fma_f64 v[98:99], v[98:99], v[134:135], -v[64:65]
	v_fmac_f64_e32 v[176:177], v[208:209], v[134:135]
	s_waitcnt vmcnt(5)
	v_mul_f64 v[64:65], v[206:207], v[110:111]
	v_fma_f64 v[64:65], v[96:97], v[108:109], -v[64:65]
	global_load_dwordx4 v[134:137], v132, s[4:5] offset:160
	v_mul_f64 v[100:101], v[96:97], v[110:111]
	v_accvgpr_write_b32 a6, v64
	v_fmac_f64_e32 v[100:101], v[206:207], v[108:109]
	global_load_dwordx4 v[206:209], v132, s[4:5] offset:176
	v_accvgpr_write_b32 a7, v65
	global_load_dwordx4 v[108:111], v174, s[4:5] offset:144
	s_waitcnt vmcnt(7)
	v_mul_f64 v[64:65], v[200:201], v[242:243]
	s_waitcnt lgkmcnt(9)
	v_mul_f64 v[192:193], v[94:95], v[242:243]
	v_fma_f64 v[216:217], v[94:95], v[240:241], -v[64:65]
	s_waitcnt vmcnt(6)
	v_mul_f64 v[94:95], v[92:93], v[106:107]
	v_mul_f64 v[64:65], v[198:199], v[106:107]
	v_fmac_f64_e32 v[192:193], v[200:201], v[240:241]
	v_fmac_f64_e32 v[94:95], v[198:199], v[104:105]
	v_fma_f64 v[200:201], v[92:93], v[104:105], -v[64:65]
	global_load_dwordx4 v[104:107], v174, s[4:5] offset:160
	s_waitcnt vmcnt(6) lgkmcnt(8)
	v_mul_f64 v[198:199], v[90:91], v[156:157]
	v_mul_f64 v[64:65], v[196:197], v[156:157]
	v_fmac_f64_e32 v[198:199], v[196:197], v[154:155]
	v_fma_f64 v[196:197], v[90:91], v[154:155], -v[64:65]
	global_load_dwordx4 v[154:157], v132, s[4:5] offset:192
	s_waitcnt vmcnt(6)
	v_mul_f64 v[64:65], v[194:195], v[114:115]
	v_mul_f64 v[96:97], v[88:89], v[114:115]
	v_fma_f64 v[114:115], v[88:89], v[112:113], -v[64:65]
	global_load_dwordx4 v[88:91], v174, s[4:5] offset:176
	v_fmac_f64_e32 v[96:97], v[194:195], v[112:113]
	v_accvgpr_write_b32 a32, v98
	v_accvgpr_write_b32 a34, v216
	;; [unrolled: 1-line block ×4, first 2 shown]
	s_waitcnt vmcnt(5)
	v_mul_f64 v[64:65], v[188:189], v[136:137]
	s_waitcnt lgkmcnt(7)
	v_fma_f64 v[92:93], v[82:83], v[134:135], -v[64:65]
	v_mul_f64 v[194:195], v[82:83], v[136:137]
	v_fmac_f64_e32 v[194:195], v[188:189], v[134:135]
	s_waitcnt vmcnt(3)
	v_mul_f64 v[112:113], v[80:81], v[110:111]
	v_mul_f64 v[64:65], v[186:187], v[110:111]
	v_fmac_f64_e32 v[112:113], v[186:187], v[108:109]
	v_fma_f64 v[136:137], v[80:81], v[108:109], -v[64:65]
	global_load_dwordx4 v[80:83], v174, s[4:5] offset:192
	s_waitcnt lgkmcnt(6)
	v_mul_f64 v[186:187], v[78:79], v[208:209]
	v_mul_f64 v[64:65], v[184:185], v[208:209]
	v_fmac_f64_e32 v[186:187], v[184:185], v[206:207]
	v_fma_f64 v[184:185], v[78:79], v[206:207], -v[64:65]
	global_load_dwordx4 v[108:111], v132, s[4:5] offset:224
	s_waitcnt vmcnt(4)
	v_mul_f64 v[64:65], v[182:183], v[106:107]
	v_fma_f64 v[64:65], v[76:77], v[104:105], -v[64:65]
	v_mul_f64 v[126:127], v[76:77], v[106:107]
	global_load_dwordx4 v[76:79], v174, s[4:5] offset:208
	v_accvgpr_write_b32 a14, v64
	v_fmac_f64_e32 v[126:127], v[182:183], v[104:105]
	v_accvgpr_write_b32 a15, v65
	s_waitcnt vmcnt(4) lgkmcnt(5)
	v_mul_f64 v[182:183], v[74:75], v[156:157]
	v_mul_f64 v[64:65], v[180:181], v[156:157]
	s_waitcnt vmcnt(3)
	v_mul_f64 v[134:135], v[72:73], v[90:91]
	v_fmac_f64_e32 v[182:183], v[180:181], v[154:155]
	v_fma_f64 v[180:181], v[74:75], v[154:155], -v[64:65]
	v_fmac_f64_e32 v[134:135], v[178:179], v[88:89]
	v_mul_f64 v[64:65], v[178:179], v[90:91]
	v_add_u32_e32 v179, 34, v234
	v_fma_f64 v[106:107], v[72:73], v[88:89], -v[64:65]
	v_mul_lo_u16_sdwa v64, v179, v133 dst_sel:DWORD dst_unused:UNUSED_PAD src0_sel:BYTE_0 src1_sel:DWORD
	v_sub_u16_sdwa v65, v179, v64 dst_sel:DWORD dst_unused:UNUSED_PAD src0_sel:DWORD src1_sel:BYTE_1
	global_load_dwordx4 v[102:105], v132, s[4:5] offset:240
	v_lshrrev_b16_e32 v65, 1, v65
	global_load_dwordx4 v[72:75], v174, s[4:5] offset:224
	v_and_b32_e32 v65, 0x7f, v65
	v_add_u16_sdwa v64, v65, v64 dst_sel:DWORD dst_unused:UNUSED_PAD src0_sel:DWORD src1_sel:BYTE_1
	v_lshrrev_b16_e32 v64, 2, v64
	v_mul_lo_u16_e32 v64, 7, v64
	v_sub_u16_e32 v90, v179, v64
	v_lshlrev_b32_sdwa v91, v244, v90 dst_sel:DWORD dst_unused:UNUSED_PAD src0_sel:DWORD src1_sel:BYTE_0
	global_load_dwordx4 v[208:211], v91, s[4:5]
	s_waitcnt lgkmcnt(4)
	v_mul_f64 v[206:207], v[70:71], v[214:215]
	v_mul_f64 v[64:65], v[168:169], v[214:215]
	v_fmac_f64_e32 v[206:207], v[168:169], v[212:213]
	v_fma_f64 v[212:213], v[70:71], v[212:213], -v[64:65]
	global_load_dwordx4 v[188:191], v91, s[4:5] offset:32
	s_waitcnt vmcnt(6)
	v_mul_f64 v[154:155], v[68:69], v[82:83]
	v_mul_f64 v[64:65], v[166:167], v[82:83]
	v_fmac_f64_e32 v[154:155], v[166:167], v[80:81]
	v_fma_f64 v[156:157], v[68:69], v[80:81], -v[64:65]
	global_load_dwordx4 v[80:83], v91, s[4:5] offset:48
	global_load_dwordx4 v[166:169], v91, s[4:5] offset:16
	s_waitcnt vmcnt(7) lgkmcnt(3)
	v_mul_f64 v[214:215], v[62:63], v[110:111]
	v_mul_f64 v[64:65], v[160:161], v[110:111]
	v_fmac_f64_e32 v[214:215], v[160:161], v[108:109]
	v_fma_f64 v[240:241], v[62:63], v[108:109], -v[64:65]
	s_waitcnt vmcnt(6)
	v_mul_f64 v[160:161], v[60:61], v[78:79]
	v_mul_f64 v[62:63], v[158:159], v[78:79]
	v_fmac_f64_e32 v[160:161], v[158:159], v[76:77]
	v_fma_f64 v[158:159], v[60:61], v[76:77], -v[62:63]
	global_load_dwordx4 v[76:79], v91, s[4:5] offset:64
	s_waitcnt vmcnt(6) lgkmcnt(2)
	v_mul_f64 v[242:243], v[58:59], v[104:105]
	v_mul_f64 v[60:61], v[148:149], v[104:105]
	v_fmac_f64_e32 v[242:243], v[148:149], v[102:103]
	v_fma_f64 v[244:245], v[58:59], v[102:103], -v[60:61]
	s_waitcnt vmcnt(5)
	v_mul_f64 v[148:149], v[56:57], v[74:75]
	v_mul_f64 v[58:59], v[146:147], v[74:75]
	v_fmac_f64_e32 v[148:149], v[146:147], v[72:73]
	v_fma_f64 v[102:103], v[56:57], v[72:73], -v[58:59]
	global_load_dwordx4 v[72:75], v91, s[4:5] offset:80
	global_load_dwordx4 v[68:71], v91, s[4:5] offset:96
	s_waitcnt vmcnt(6)
	v_mul_f64 v[56:57], v[164:165], v[210:211]
	v_mul_f64 v[108:109], v[66:67], v[210:211]
	v_fma_f64 v[56:57], v[66:67], v[208:209], -v[56:57]
	global_load_dwordx4 v[64:67], v174, s[4:5] offset:240
	global_load_dwordx4 v[60:63], v91, s[4:5] offset:112
	v_accvgpr_write_b32 a8, v56
	v_fmac_f64_e32 v[108:109], v[164:165], v[208:209]
	v_accvgpr_write_b32 a9, v57
	s_waitcnt vmcnt(7)
	v_mul_f64 v[88:89], v[86:87], v[190:191]
	v_fmac_f64_e32 v[88:89], v[152:153], v[188:189]
	v_accvgpr_read_b32 v174, a3
	s_waitcnt vmcnt(6)
	v_mul_f64 v[164:165], v[52:53], v[82:83]
	s_waitcnt vmcnt(5)
	v_mul_f64 v[56:57], v[150:151], v[168:169]
	v_mul_f64 v[104:105], v[84:85], v[168:169]
	v_fma_f64 v[168:169], v[84:85], v[166:167], -v[56:57]
	v_mul_f64 v[56:57], v[152:153], v[190:191]
	v_fmac_f64_e32 v[164:165], v[28:29], v[80:81]
	v_mul_f64 v[28:29], v[28:29], v[82:83]
	v_fma_f64 v[152:153], v[86:87], v[188:189], -v[56:57]
	global_load_dwordx4 v[56:59], v91, s[4:5] offset:128
	global_load_dwordx4 v[84:87], v132, s[4:5]
	v_fma_f64 v[28:29], v[52:53], v[80:81], -v[28:29]
	v_fmac_f64_e32 v[104:105], v[150:151], v[166:167]
	v_accvgpr_write_b32 a39, v29
	s_waitcnt vmcnt(6)
	v_mul_f64 v[150:151], v[54:55], v[78:79]
	v_accvgpr_write_b32 a38, v28
	v_fmac_f64_e32 v[150:151], v[30:31], v[76:77]
	v_mul_f64 v[52:53], v[30:31], v[78:79]
	global_load_dwordx4 v[28:31], v91, s[4:5] offset:144
	v_fma_f64 v[52:53], v[54:55], v[76:77], -v[52:53]
	v_accvgpr_write_b32 a30, v52
	v_accvgpr_write_b32 a31, v53
	global_load_dwordx4 v[52:55], v91, s[4:5] offset:160
	global_load_dwordx4 v[76:79], v91, s[4:5] offset:176
	;; [unrolled: 1-line block ×4, first 2 shown]
	v_add_f64 v[166:167], v[176:177], v[192:193]
	s_waitcnt vmcnt(10)
	v_mul_f64 v[146:147], v[48:49], v[74:75]
	v_fmac_f64_e32 v[146:147], v[24:25], v[72:73]
	v_mul_f64 v[24:25], v[24:25], v[74:75]
	v_fma_f64 v[24:25], v[48:49], v[72:73], -v[24:25]
	v_accvgpr_write_b32 a27, v25
	v_accvgpr_write_b32 a26, v24
	s_waitcnt vmcnt(9)
	v_mul_f64 v[24:25], v[26:27], v[70:71]
	v_fma_f64 v[24:25], v[50:51], v[68:69], -v[24:25]
	v_mul_f64 v[48:49], v[50:51], v[70:71]
	v_accvgpr_write_b32 a29, v25
	v_fmac_f64_e32 v[48:49], v[26:27], v[68:69]
	v_accvgpr_write_b32 a28, v24
	s_waitcnt vmcnt(8) lgkmcnt(0)
	v_mul_f64 v[24:25], v[254:255], v[66:67]
	v_mul_f64 v[26:27], v[246:247], v[66:67]
	v_fmac_f64_e32 v[24:25], v[246:247], v[64:65]
	v_fma_f64 v[26:27], v[254:255], v[64:65], -v[26:27]
	global_load_dwordx4 v[64:67], v91, s[4:5] offset:208
	s_waitcnt vmcnt(8)
	v_mul_f64 v[50:51], v[44:45], v[62:63]
	v_fmac_f64_e32 v[50:51], v[20:21], v[60:61]
	v_mul_f64 v[20:21], v[20:21], v[62:63]
	v_fma_f64 v[210:211], v[44:45], v[60:61], -v[20:21]
	global_load_dwordx4 v[60:63], v91, s[4:5] offset:224
	s_waitcnt lgkmcnt(0)
	; wave barrier
	s_waitcnt vmcnt(8)
	v_mul_f64 v[20:21], v[22:23], v[58:59]
	v_fma_f64 v[254:255], v[46:47], v[56:57], -v[20:21]
	s_waitcnt vmcnt(7)
	v_mul_f64 v[20:21], v[2:3], v[86:87]
	v_fmac_f64_e32 v[20:21], v[6:7], v[84:85]
	v_mul_f64 v[6:7], v[6:7], v[86:87]
	v_fma_f64 v[2:3], v[2:3], v[84:85], -v[6:7]
	v_mul_f64 v[68:69], v[46:47], v[58:59]
	v_fmac_f64_e32 v[68:69], v[22:23], v[56:57]
	s_waitcnt vmcnt(6)
	v_mul_f64 v[6:7], v[16:17], v[30:31]
	v_fma_f64 v[6:7], v[40:41], v[28:29], -v[6:7]
	v_accvgpr_write_b32 a37, v7
	v_accvgpr_write_b32 a36, v6
	s_waitcnt vmcnt(5)
	v_mul_f64 v[6:7], v[18:19], v[54:55]
	v_fma_f64 v[6:7], v[42:43], v[52:53], -v[6:7]
	v_accvgpr_write_b32 a43, v7
	v_accvgpr_write_b32 a42, v6
	;; [unrolled: 5-line block ×4, first 2 shown]
	s_waitcnt vmcnt(2)
	v_mul_f64 v[246:247], v[252:253], v[190:191]
	v_mul_f64 v[56:57], v[40:41], v[30:31]
	;; [unrolled: 1-line block ×5, first 2 shown]
	v_fmac_f64_e32 v[246:247], v[248:249], v[188:189]
	v_fmac_f64_e32 v[56:57], v[16:17], v[28:29]
	;; [unrolled: 1-line block ×5, first 2 shown]
	v_mad_u32_u24 v36, v175, s33, 0
	s_waitcnt vmcnt(1)
	v_mul_f64 v[6:7], v[8:9], v[66:67]
	v_fma_f64 v[6:7], v[32:33], v[64:65], -v[6:7]
	v_accvgpr_write_b32 a61, v7
	v_accvgpr_write_b32 a60, v6
	v_mul_f64 v[86:87], v[32:33], v[66:67]
	s_waitcnt vmcnt(0)
	v_mul_f64 v[6:7], v[10:11], v[62:63]
	v_fma_f64 v[6:7], v[34:35], v[60:61], -v[6:7]
	v_accvgpr_write_b32 a63, v7
	v_fmac_f64_e32 v[86:87], v[8:9], v[64:65]
	v_mul_f64 v[208:209], v[34:35], v[62:63]
	v_accvgpr_write_b32 a62, v6
	v_mul_f64 v[6:7], v[248:249], v[190:191]
	v_add_f64 v[8:9], v[2:3], -v[244:245]
	v_fmac_f64_e32 v[208:209], v[10:11], v[60:61]
	v_fma_f64 v[248:249], v[252:253], v[188:189], -v[6:7]
	v_add_f64 v[6:7], v[20:21], v[242:243]
	v_mul_f64 v[10:11], v[8:9], s[2:3]
	v_fma_f64 v[12:13], s[10:11], v[6:7], v[10:11]
	v_mul_f64 v[14:15], v[8:9], s[6:7]
	v_mul_f64 v[18:19], v[8:9], s[8:9]
	;; [unrolled: 1-line block ×7, first 2 shown]
	v_add_f64 v[66:67], v[128:129], -v[240:241]
	v_fma_f64 v[10:11], v[6:7], s[10:11], -v[10:11]
	v_fma_f64 v[16:17], s[14:15], v[6:7], v[14:15]
	v_fma_f64 v[14:15], v[6:7], s[14:15], -v[14:15]
	v_fma_f64 v[22:23], s[16:17], v[6:7], v[18:19]
	;; [unrolled: 2-line block ×7, first 2 shown]
	v_fma_f64 v[6:7], v[6:7], s[36:37], -v[8:9]
	v_add_f64 v[8:9], v[250:251], v[12:13]
	v_add_f64 v[12:13], v[238:239], v[214:215]
	v_mul_f64 v[76:77], v[66:67], s[6:7]
	v_fma_f64 v[78:79], s[14:15], v[12:13], v[76:77]
	v_add_f64 v[10:11], v[250:251], v[10:11]
	v_fma_f64 v[76:77], v[12:13], s[14:15], -v[76:77]
	v_add_f64 v[10:11], v[76:77], v[10:11]
	v_mul_f64 v[76:77], v[66:67], s[12:13]
	v_add_f64 v[8:9], v[78:79], v[8:9]
	v_fma_f64 v[78:79], s[18:19], v[12:13], v[76:77]
	v_add_f64 v[14:15], v[250:251], v[14:15]
	v_fma_f64 v[76:77], v[12:13], s[18:19], -v[76:77]
	v_add_f64 v[16:17], v[250:251], v[16:17]
	v_add_f64 v[14:15], v[76:77], v[14:15]
	v_mul_f64 v[76:77], v[66:67], s[24:25]
	v_add_f64 v[16:17], v[78:79], v[16:17]
	v_fma_f64 v[78:79], s[26:27], v[12:13], v[76:77]
	v_add_f64 v[18:19], v[250:251], v[18:19]
	v_fma_f64 v[76:77], v[12:13], s[26:27], -v[76:77]
	v_add_f64 v[22:23], v[250:251], v[22:23]
	;; [unrolled: 7-line block ×5, first 2 shown]
	v_add_f64 v[52:53], v[76:77], v[52:53]
	v_mul_f64 v[76:77], v[66:67], s[40:41]
	v_add_f64 v[54:55], v[78:79], v[54:55]
	v_fma_f64 v[78:79], s[16:17], v[12:13], v[76:77]
	v_add_f64 v[60:61], v[250:251], v[60:61]
	v_fma_f64 v[76:77], v[12:13], s[16:17], -v[76:77]
	v_mul_f64 v[66:67], v[66:67], s[44:45]
	v_add_f64 v[60:61], v[76:77], v[60:61]
	v_add_f64 v[64:65], v[250:251], v[64:65]
	v_fma_f64 v[76:77], s[10:11], v[12:13], v[66:67]
	v_fma_f64 v[12:13], v[12:13], s[10:11], -v[66:67]
	v_add_f64 v[6:7], v[250:251], v[6:7]
	v_add_f64 v[66:67], v[140:141], -v[212:213]
	v_add_f64 v[62:63], v[250:251], v[62:63]
	v_add_f64 v[64:65], v[76:77], v[64:65]
	;; [unrolled: 1-line block ×4, first 2 shown]
	v_mul_f64 v[76:77], v[66:67], s[8:9]
	v_add_f64 v[62:63], v[78:79], v[62:63]
	v_fma_f64 v[78:79], s[16:17], v[12:13], v[76:77]
	v_fma_f64 v[76:77], v[12:13], s[16:17], -v[76:77]
	v_add_f64 v[10:11], v[76:77], v[10:11]
	v_mul_f64 v[76:77], v[66:67], s[24:25]
	v_add_f64 v[8:9], v[78:79], v[8:9]
	v_fma_f64 v[78:79], s[26:27], v[12:13], v[76:77]
	v_fma_f64 v[76:77], v[12:13], s[26:27], -v[76:77]
	v_add_f64 v[14:15], v[76:77], v[14:15]
	v_mul_f64 v[76:77], v[66:67], s[48:49]
	v_add_f64 v[16:17], v[78:79], v[16:17]
	v_fma_f64 v[78:79], s[36:37], v[12:13], v[76:77]
	v_fma_f64 v[76:77], v[12:13], s[36:37], -v[76:77]
	v_add_f64 v[18:19], v[76:77], v[18:19]
	v_mul_f64 v[76:77], v[66:67], s[38:39]
	v_add_f64 v[22:23], v[78:79], v[22:23]
	v_fma_f64 v[78:79], s[22:23], v[12:13], v[76:77]
	v_fma_f64 v[76:77], v[12:13], s[22:23], -v[76:77]
	v_add_f64 v[28:29], v[76:77], v[28:29]
	v_mul_f64 v[76:77], v[66:67], s[46:47]
	v_add_f64 v[30:31], v[78:79], v[30:31]
	v_fma_f64 v[78:79], s[14:15], v[12:13], v[76:77]
	v_fma_f64 v[76:77], v[12:13], s[14:15], -v[76:77]
	v_add_f64 v[32:33], v[76:77], v[32:33]
	v_mul_f64 v[76:77], v[66:67], s[2:3]
	v_add_f64 v[34:35], v[78:79], v[34:35]
	v_fma_f64 v[78:79], s[10:11], v[12:13], v[76:77]
	v_fma_f64 v[76:77], v[12:13], s[10:11], -v[76:77]
	v_add_f64 v[52:53], v[76:77], v[52:53]
	v_mul_f64 v[76:77], v[66:67], s[12:13]
	v_add_f64 v[54:55], v[78:79], v[54:55]
	v_fma_f64 v[78:79], s[18:19], v[12:13], v[76:77]
	v_fma_f64 v[76:77], v[12:13], s[18:19], -v[76:77]
	v_mul_f64 v[66:67], v[66:67], s[28:29]
	v_add_f64 v[60:61], v[76:77], v[60:61]
	v_fma_f64 v[76:77], s[30:31], v[12:13], v[66:67]
	v_fma_f64 v[12:13], v[12:13], s[30:31], -v[66:67]
	v_add_f64 v[66:67], v[144:145], -v[180:181]
	v_add_f64 v[64:65], v[76:77], v[64:65]
	v_add_f64 v[6:7], v[12:13], v[6:7]
	v_add_f64 v[12:13], v[226:227], v[182:183]
	v_mul_f64 v[76:77], v[66:67], s[12:13]
	v_add_f64 v[62:63], v[78:79], v[62:63]
	v_fma_f64 v[78:79], s[18:19], v[12:13], v[76:77]
	v_fma_f64 v[76:77], v[12:13], s[18:19], -v[76:77]
	v_add_f64 v[10:11], v[76:77], v[10:11]
	v_mul_f64 v[76:77], v[66:67], s[34:35]
	v_add_f64 v[8:9], v[78:79], v[8:9]
	v_fma_f64 v[78:79], s[36:37], v[12:13], v[76:77]
	v_fma_f64 v[76:77], v[12:13], s[36:37], -v[76:77]
	v_add_f64 v[14:15], v[76:77], v[14:15]
	v_mul_f64 v[76:77], v[66:67], s[38:39]
	v_add_f64 v[16:17], v[78:79], v[16:17]
	v_fma_f64 v[78:79], s[22:23], v[12:13], v[76:77]
	v_fma_f64 v[76:77], v[12:13], s[22:23], -v[76:77]
	v_add_f64 v[18:19], v[76:77], v[18:19]
	v_mul_f64 v[76:77], v[66:67], s[44:45]
	v_add_f64 v[22:23], v[78:79], v[22:23]
	v_fma_f64 v[78:79], s[10:11], v[12:13], v[76:77]
	v_fma_f64 v[76:77], v[12:13], s[10:11], -v[76:77]
	v_add_f64 v[28:29], v[76:77], v[28:29]
	v_mul_f64 v[76:77], v[66:67], s[8:9]
	v_add_f64 v[30:31], v[78:79], v[30:31]
	v_fma_f64 v[78:79], s[16:17], v[12:13], v[76:77]
	v_fma_f64 v[76:77], v[12:13], s[16:17], -v[76:77]
	v_add_f64 v[32:33], v[76:77], v[32:33]
	v_mul_f64 v[76:77], v[66:67], s[28:29]
	v_add_f64 v[34:35], v[78:79], v[34:35]
	v_fma_f64 v[78:79], s[30:31], v[12:13], v[76:77]
	v_fma_f64 v[76:77], v[12:13], s[30:31], -v[76:77]
	v_add_f64 v[52:53], v[76:77], v[52:53]
	v_mul_f64 v[76:77], v[66:67], s[50:51]
	v_add_f64 v[54:55], v[78:79], v[54:55]
	v_fma_f64 v[78:79], s[26:27], v[12:13], v[76:77]
	v_fma_f64 v[76:77], v[12:13], s[26:27], -v[76:77]
	v_mul_f64 v[66:67], v[66:67], s[46:47]
	v_add_f64 v[60:61], v[76:77], v[60:61]
	v_fma_f64 v[76:77], s[14:15], v[12:13], v[66:67]
	v_fma_f64 v[12:13], v[12:13], s[14:15], -v[66:67]
	v_add_f64 v[66:67], v[204:205], -v[184:185]
	v_add_f64 v[64:65], v[76:77], v[64:65]
	v_add_f64 v[6:7], v[12:13], v[6:7]
	v_add_f64 v[12:13], v[222:223], v[186:187]
	;; [unrolled: 42-line block ×4, first 2 shown]
	v_mul_f64 v[76:77], v[66:67], s[28:29]
	v_add_f64 v[62:63], v[78:79], v[62:63]
	v_fma_f64 v[78:79], s[30:31], v[12:13], v[76:77]
	v_fma_f64 v[76:77], v[12:13], s[30:31], -v[76:77]
	v_add_f64 v[10:11], v[76:77], v[10:11]
	v_mul_f64 v[76:77], v[66:67], s[40:41]
	v_add_f64 v[8:9], v[78:79], v[8:9]
	v_fma_f64 v[78:79], s[16:17], v[12:13], v[76:77]
	v_fma_f64 v[76:77], v[12:13], s[16:17], -v[76:77]
	v_add_f64 v[14:15], v[76:77], v[14:15]
	v_mul_f64 v[76:77], v[66:67], s[12:13]
	v_add_f64 v[16:17], v[78:79], v[16:17]
	v_fma_f64 v[78:79], s[18:19], v[12:13], v[76:77]
	v_add_f64 v[78:79], v[78:79], v[22:23]
	v_fma_f64 v[22:23], v[12:13], s[18:19], -v[76:77]
	v_add_f64 v[18:19], v[22:23], v[18:19]
	v_mul_f64 v[22:23], v[66:67], s[50:51]
	v_fma_f64 v[76:77], s[26:27], v[12:13], v[22:23]
	v_fma_f64 v[22:23], v[12:13], s[26:27], -v[22:23]
	v_add_f64 v[30:31], v[76:77], v[30:31]
	v_add_f64 v[76:77], v[22:23], v[28:29]
	v_mul_f64 v[22:23], v[66:67], s[2:3]
	v_fma_f64 v[28:29], s[10:11], v[12:13], v[22:23]
	v_fma_f64 v[22:23], v[12:13], s[10:11], -v[22:23]
	v_add_f64 v[80:81], v[22:23], v[32:33]
	v_mul_f64 v[22:23], v[66:67], s[34:35]
	v_add_f64 v[34:35], v[28:29], v[34:35]
	v_fma_f64 v[28:29], s[36:37], v[12:13], v[22:23]
	v_fma_f64 v[22:23], v[12:13], s[36:37], -v[22:23]
	v_add_f64 v[82:83], v[22:23], v[52:53]
	v_mul_f64 v[22:23], v[66:67], s[46:47]
	v_add_f64 v[54:55], v[28:29], v[54:55]
	v_fma_f64 v[28:29], s[14:15], v[12:13], v[22:23]
	v_fma_f64 v[22:23], v[12:13], s[14:15], -v[22:23]
	v_add_f64 v[132:133], v[22:23], v[60:61]
	v_mul_f64 v[22:23], v[66:67], s[20:21]
	v_add_f64 v[62:63], v[28:29], v[62:63]
	v_fma_f64 v[28:29], s[22:23], v[12:13], v[22:23]
	v_fma_f64 v[12:13], v[12:13], s[22:23], -v[22:23]
	v_add_f64 v[188:189], v[98:99], -v[216:217]
	v_add_f64 v[66:67], v[12:13], v[6:7]
	v_mul_f64 v[6:7], v[188:189], s[34:35]
	v_fma_f64 v[12:13], s[36:37], v[166:167], v[6:7]
	v_add_f64 v[64:65], v[28:29], v[64:65]
	v_add_f64 v[28:29], v[12:13], v[8:9]
	v_fma_f64 v[6:7], v[166:167], s[36:37], -v[6:7]
	v_mul_f64 v[8:9], v[188:189], s[44:45]
	v_add_f64 v[6:7], v[6:7], v[10:11]
	v_fma_f64 v[10:11], s[10:11], v[166:167], v[8:9]
	v_add_f64 v[22:23], v[10:11], v[16:17]
	v_mul_f64 v[10:11], v[188:189], s[28:29]
	v_fma_f64 v[12:13], s[30:31], v[166:167], v[10:11]
	v_fma_f64 v[8:9], v[166:167], s[10:11], -v[8:9]
	v_add_f64 v[32:33], v[12:13], v[78:79]
	v_mul_f64 v[12:13], v[188:189], s[46:47]
	v_add_f64 v[8:9], v[8:9], v[14:15]
	v_fma_f64 v[14:15], s[14:15], v[166:167], v[12:13]
	v_add_f64 v[30:31], v[14:15], v[30:31]
	v_mul_f64 v[14:15], v[188:189], s[24:25]
	v_fma_f64 v[16:17], s[26:27], v[166:167], v[14:15]
	v_fma_f64 v[10:11], v[166:167], s[30:31], -v[10:11]
	v_add_f64 v[52:53], v[16:17], v[34:35]
	v_mul_f64 v[16:17], v[188:189], s[40:41]
	v_add_f64 v[10:11], v[10:11], v[18:19]
	v_fma_f64 v[18:19], s[16:17], v[166:167], v[16:17]
	v_add_f64 v[34:35], v[18:19], v[54:55]
	v_mul_f64 v[18:19], v[188:189], s[20:21]
	v_fma_f64 v[54:55], s[22:23], v[166:167], v[18:19]
	v_add_f64 v[60:61], v[54:55], v[62:63]
	v_mul_f64 v[62:63], v[188:189], s[52:53]
	v_fma_f64 v[54:55], s[18:19], v[166:167], v[62:63]
	v_add_f64 v[54:55], v[54:55], v[64:65]
	v_add_f64 v[64:65], v[250:251], v[20:21]
	;; [unrolled: 1-line block ×13, first 2 shown]
	v_fma_f64 v[16:17], v[166:167], s[16:17], -v[16:17]
	v_add_f64 v[64:65], v[64:65], v[182:183]
	v_add_f64 v[16:17], v[16:17], v[82:83]
	;; [unrolled: 1-line block ×3, first 2 shown]
	v_mov_b32_e32 v82, 3
	v_add_f64 v[64:65], v[64:65], v[214:215]
	v_lshlrev_b32_sdwa v37, v82, v235 dst_sel:DWORD dst_unused:UNUSED_PAD src0_sel:DWORD src1_sel:BYTE_0
	v_fma_f64 v[12:13], v[166:167], s[14:15], -v[12:13]
	v_fma_f64 v[14:15], v[166:167], s[26:27], -v[14:15]
	;; [unrolled: 1-line block ×4, first 2 shown]
	v_add_f64 v[64:65], v[64:65], v[242:243]
	v_add3_u32 v91, v36, v37, v174
	v_add_f64 v[12:13], v[12:13], v[76:77]
	v_add_f64 v[14:15], v[14:15], v[80:81]
	v_add_f64 v[18:19], v[18:19], v[132:133]
	v_add_f64 v[62:63], v[62:63], v[66:67]
	ds_write2_b64 v91, v[64:65], v[28:29] offset1:7
	v_add_f64 v[64:65], v[232:233], -v[26:27]
	v_add_f64 v[28:29], v[170:171], v[24:25]
	ds_write2_b64 v91, v[22:23], v[32:33] offset0:14 offset1:21
	v_mul_f64 v[32:33], v[64:65], s[2:3]
	ds_write2_b64 v91, v[30:31], v[52:53] offset0:28 offset1:35
	v_mul_f64 v[52:53], v[64:65], s[6:7]
	;; [unrolled: 2-line block ×7, first 2 shown]
	v_mul_f64 v[64:65], v[64:65], s[34:35]
	v_fma_f64 v[66:67], s[36:37], v[28:29], v[64:65]
	v_add_f64 v[76:77], v[228:229], -v[102:103]
	v_fma_f64 v[22:23], s[10:11], v[28:29], v[32:33]
	v_fma_f64 v[32:33], v[28:29], s[10:11], -v[32:33]
	v_fma_f64 v[30:31], s[14:15], v[28:29], v[52:53]
	v_fma_f64 v[52:53], v[28:29], s[14:15], -v[52:53]
	;; [unrolled: 2-line block ×7, first 2 shown]
	v_fma_f64 v[28:29], v[28:29], s[36:37], -v[64:65]
	v_add_f64 v[64:65], v[4:5], v[66:67]
	v_add_f64 v[66:67], v[142:143], v[148:149]
	v_mul_f64 v[78:79], v[76:77], s[6:7]
	v_add_f64 v[32:33], v[4:5], v[32:33]
	v_fma_f64 v[80:81], s[14:15], v[66:67], v[78:79]
	v_fma_f64 v[78:79], v[66:67], s[14:15], -v[78:79]
	v_add_f64 v[22:23], v[4:5], v[22:23]
	v_add_f64 v[32:33], v[78:79], v[32:33]
	v_mul_f64 v[78:79], v[76:77], s[12:13]
	v_add_f64 v[52:53], v[4:5], v[52:53]
	v_add_f64 v[22:23], v[80:81], v[22:23]
	v_fma_f64 v[80:81], s[18:19], v[66:67], v[78:79]
	v_fma_f64 v[78:79], v[66:67], s[18:19], -v[78:79]
	v_add_f64 v[30:31], v[4:5], v[30:31]
	v_add_f64 v[52:53], v[78:79], v[52:53]
	v_mul_f64 v[78:79], v[76:77], s[24:25]
	v_add_f64 v[60:61], v[4:5], v[60:61]
	;; [unrolled: 7-line block ×6, first 2 shown]
	v_add_f64 v[14:15], v[80:81], v[14:15]
	v_fma_f64 v[80:81], s[16:17], v[66:67], v[78:79]
	v_fma_f64 v[78:79], v[66:67], s[16:17], -v[78:79]
	v_mul_f64 v[76:77], v[76:77], s[44:45]
	v_add_f64 v[28:29], v[4:5], v[28:29]
	v_add_f64 v[8:9], v[78:79], v[8:9]
	v_fma_f64 v[78:79], s[10:11], v[66:67], v[76:77]
	v_fma_f64 v[66:67], v[66:67], s[10:11], -v[76:77]
	v_add_f64 v[76:77], v[224:225], -v[158:159]
	v_add_f64 v[10:11], v[4:5], v[10:11]
	v_add_f64 v[64:65], v[78:79], v[64:65]
	;; [unrolled: 1-line block ×4, first 2 shown]
	v_mul_f64 v[78:79], v[76:77], s[8:9]
	v_add_f64 v[10:11], v[80:81], v[10:11]
	v_fma_f64 v[80:81], s[16:17], v[66:67], v[78:79]
	v_fma_f64 v[78:79], v[66:67], s[16:17], -v[78:79]
	v_add_f64 v[32:33], v[78:79], v[32:33]
	v_mul_f64 v[78:79], v[76:77], s[24:25]
	v_add_f64 v[22:23], v[80:81], v[22:23]
	v_fma_f64 v[80:81], s[26:27], v[66:67], v[78:79]
	v_fma_f64 v[78:79], v[66:67], s[26:27], -v[78:79]
	v_add_f64 v[52:53], v[78:79], v[52:53]
	;; [unrolled: 5-line block ×6, first 2 shown]
	v_mul_f64 v[78:79], v[76:77], s[12:13]
	v_accvgpr_read_b32 v37, a13
	v_add_f64 v[14:15], v[80:81], v[14:15]
	v_fma_f64 v[80:81], s[18:19], v[66:67], v[78:79]
	v_fma_f64 v[78:79], v[66:67], s[18:19], -v[78:79]
	v_mul_f64 v[76:77], v[76:77], s[28:29]
	v_accvgpr_read_b32 v36, a12
	v_add_f64 v[8:9], v[78:79], v[8:9]
	v_fma_f64 v[78:79], s[30:31], v[66:67], v[76:77]
	v_fma_f64 v[66:67], v[66:67], s[30:31], -v[76:77]
	v_add_f64 v[76:77], v[36:37], -v[156:157]
	v_add_f64 v[64:65], v[78:79], v[64:65]
	v_add_f64 v[28:29], v[66:67], v[28:29]
	;; [unrolled: 1-line block ×3, first 2 shown]
	v_mul_f64 v[78:79], v[76:77], s[12:13]
	v_add_f64 v[10:11], v[80:81], v[10:11]
	v_fma_f64 v[80:81], s[18:19], v[66:67], v[78:79]
	v_fma_f64 v[78:79], v[66:67], s[18:19], -v[78:79]
	v_add_f64 v[32:33], v[78:79], v[32:33]
	v_mul_f64 v[78:79], v[76:77], s[34:35]
	v_add_f64 v[22:23], v[80:81], v[22:23]
	v_fma_f64 v[80:81], s[36:37], v[66:67], v[78:79]
	v_fma_f64 v[78:79], v[66:67], s[36:37], -v[78:79]
	v_add_f64 v[52:53], v[78:79], v[52:53]
	;; [unrolled: 5-line block ×6, first 2 shown]
	v_mul_f64 v[78:79], v[76:77], s[50:51]
	v_add_f64 v[14:15], v[80:81], v[14:15]
	v_fma_f64 v[80:81], s[26:27], v[66:67], v[78:79]
	v_fma_f64 v[78:79], v[66:67], s[26:27], -v[78:79]
	v_mul_f64 v[76:77], v[76:77], s[46:47]
	v_add_f64 v[8:9], v[78:79], v[8:9]
	v_fma_f64 v[78:79], s[14:15], v[66:67], v[76:77]
	v_fma_f64 v[66:67], v[66:67], s[14:15], -v[76:77]
	v_add_f64 v[76:77], v[118:119], -v[106:107]
	v_add_f64 v[64:65], v[78:79], v[64:65]
	v_add_f64 v[28:29], v[66:67], v[28:29]
	;; [unrolled: 1-line block ×3, first 2 shown]
	v_mul_f64 v[78:79], v[76:77], s[20:21]
	v_add_f64 v[10:11], v[80:81], v[10:11]
	v_fma_f64 v[80:81], s[22:23], v[66:67], v[78:79]
	v_fma_f64 v[78:79], v[66:67], s[22:23], -v[78:79]
	v_add_f64 v[32:33], v[78:79], v[32:33]
	v_mul_f64 v[78:79], v[76:77], s[42:43]
	v_add_f64 v[22:23], v[80:81], v[22:23]
	v_fma_f64 v[80:81], s[30:31], v[66:67], v[78:79]
	v_fma_f64 v[78:79], v[66:67], s[30:31], -v[78:79]
	v_add_f64 v[52:53], v[78:79], v[52:53]
	;; [unrolled: 5-line block ×5, first 2 shown]
	v_mul_f64 v[78:79], v[76:77], s[52:53]
	v_add_f64 v[16:17], v[80:81], v[16:17]
	v_fma_f64 v[80:81], s[18:19], v[66:67], v[78:79]
	v_fma_f64 v[78:79], v[66:67], s[18:19], -v[78:79]
	v_accvgpr_read_b32 v141, a15
	v_add_f64 v[12:13], v[78:79], v[12:13]
	v_mul_f64 v[78:79], v[76:77], s[2:3]
	v_accvgpr_read_b32 v37, a11
	v_accvgpr_read_b32 v140, a14
	v_add_f64 v[14:15], v[80:81], v[14:15]
	v_fma_f64 v[80:81], s[10:11], v[66:67], v[78:79]
	v_fma_f64 v[78:79], v[66:67], s[10:11], -v[78:79]
	v_mul_f64 v[76:77], v[76:77], s[24:25]
	v_accvgpr_read_b32 v36, a10
	v_add_f64 v[8:9], v[78:79], v[8:9]
	v_fma_f64 v[78:79], s[26:27], v[66:67], v[76:77]
	v_fma_f64 v[66:67], v[66:67], s[26:27], -v[76:77]
	v_add_f64 v[76:77], v[36:37], -v[140:141]
	v_add_f64 v[64:65], v[78:79], v[64:65]
	v_add_f64 v[28:29], v[66:67], v[28:29]
	;; [unrolled: 1-line block ×3, first 2 shown]
	v_mul_f64 v[78:79], v[76:77], s[24:25]
	v_add_f64 v[10:11], v[80:81], v[10:11]
	v_fma_f64 v[80:81], s[26:27], v[66:67], v[78:79]
	v_fma_f64 v[78:79], v[66:67], s[26:27], -v[78:79]
	v_add_f64 v[32:33], v[78:79], v[32:33]
	v_mul_f64 v[78:79], v[76:77], s[38:39]
	v_add_f64 v[22:23], v[80:81], v[22:23]
	v_fma_f64 v[80:81], s[22:23], v[66:67], v[78:79]
	v_fma_f64 v[78:79], v[66:67], s[22:23], -v[78:79]
	v_add_f64 v[52:53], v[78:79], v[52:53]
	;; [unrolled: 5-line block ×6, first 2 shown]
	v_mul_f64 v[78:79], v[76:77], s[34:35]
	v_accvgpr_read_b32 v37, a7
	v_add_f64 v[14:15], v[80:81], v[14:15]
	v_fma_f64 v[80:81], s[36:37], v[66:67], v[78:79]
	v_fma_f64 v[78:79], v[66:67], s[36:37], -v[78:79]
	v_mul_f64 v[76:77], v[76:77], s[40:41]
	v_accvgpr_read_b32 v36, a6
	v_add_f64 v[8:9], v[78:79], v[8:9]
	v_fma_f64 v[78:79], s[16:17], v[66:67], v[76:77]
	v_fma_f64 v[66:67], v[66:67], s[16:17], -v[76:77]
	v_add_f64 v[76:77], v[36:37], -v[136:137]
	v_add_f64 v[64:65], v[78:79], v[64:65]
	v_add_f64 v[28:29], v[66:67], v[28:29]
	;; [unrolled: 1-line block ×3, first 2 shown]
	v_mul_f64 v[78:79], v[76:77], s[28:29]
	v_add_f64 v[10:11], v[80:81], v[10:11]
	v_fma_f64 v[80:81], s[30:31], v[66:67], v[78:79]
	v_fma_f64 v[78:79], v[66:67], s[30:31], -v[78:79]
	v_add_f64 v[32:33], v[78:79], v[32:33]
	v_mul_f64 v[78:79], v[76:77], s[40:41]
	v_add_f64 v[22:23], v[80:81], v[22:23]
	v_fma_f64 v[80:81], s[16:17], v[66:67], v[78:79]
	v_fma_f64 v[78:79], v[66:67], s[16:17], -v[78:79]
	v_add_f64 v[52:53], v[78:79], v[52:53]
	;; [unrolled: 5-line block ×6, first 2 shown]
	v_mul_f64 v[78:79], v[76:77], s[46:47]
	v_add_f64 v[14:15], v[80:81], v[14:15]
	v_fma_f64 v[80:81], s[14:15], v[66:67], v[78:79]
	v_fma_f64 v[78:79], v[66:67], s[14:15], -v[78:79]
	v_mul_f64 v[76:77], v[76:77], s[20:21]
	v_add_f64 v[4:5], v[4:5], v[170:171]
	v_add_f64 v[8:9], v[78:79], v[8:9]
	v_fma_f64 v[78:79], s[22:23], v[66:67], v[76:77]
	v_fma_f64 v[66:67], v[66:67], s[22:23], -v[76:77]
	v_add_f64 v[76:77], v[200:201], -v[114:115]
	v_add_f64 v[64:65], v[78:79], v[64:65]
	v_add_f64 v[28:29], v[66:67], v[28:29]
	;; [unrolled: 1-line block ×3, first 2 shown]
	v_mul_f64 v[78:79], v[76:77], s[34:35]
	v_add_f64 v[4:5], v[4:5], v[142:143]
	v_add_f64 v[10:11], v[80:81], v[10:11]
	v_fma_f64 v[80:81], s[36:37], v[66:67], v[78:79]
	v_fma_f64 v[78:79], v[66:67], s[36:37], -v[78:79]
	v_add_f64 v[4:5], v[4:5], v[138:139]
	v_add_f64 v[32:33], v[78:79], v[32:33]
	v_mul_f64 v[78:79], v[76:77], s[44:45]
	v_add_f64 v[4:5], v[4:5], v[130:131]
	v_add_f64 v[22:23], v[80:81], v[22:23]
	v_fma_f64 v[80:81], s[10:11], v[66:67], v[78:79]
	v_fma_f64 v[78:79], v[66:67], s[10:11], -v[78:79]
	v_add_f64 v[4:5], v[4:5], v[120:121]
	v_add_f64 v[52:53], v[78:79], v[52:53]
	;; [unrolled: 7-line block ×5, first 2 shown]
	v_mul_f64 v[78:79], v[76:77], s[40:41]
	v_add_f64 v[4:5], v[4:5], v[134:135]
	v_add_f64 v[16:17], v[80:81], v[16:17]
	v_fma_f64 v[80:81], s[16:17], v[66:67], v[78:79]
	v_fma_f64 v[78:79], v[66:67], s[16:17], -v[78:79]
	v_add_f64 v[4:5], v[4:5], v[154:155]
	v_accvgpr_mov_b32 a15, a11
	v_add_f64 v[12:13], v[78:79], v[12:13]
	v_mul_f64 v[78:79], v[76:77], s[20:21]
	v_add_f64 v[4:5], v[4:5], v[160:161]
	ds_write_b64 v91, v[6:7] offset:896
	v_accvgpr_read_b32 v6, a4
	v_accvgpr_mov_b32 a14, a10
	v_accvgpr_mov_b32 a13, a7
	v_accvgpr_write_b32 a10, v200
	v_add_f64 v[14:15], v[80:81], v[14:15]
	v_fma_f64 v[80:81], s[22:23], v[66:67], v[78:79]
	v_fma_f64 v[78:79], v[66:67], s[22:23], -v[78:79]
	v_mul_f64 v[76:77], v[76:77], s[52:53]
	v_add_f64 v[4:5], v[4:5], v[148:149]
	v_mad_u32_u24 v6, v6, s33, 0
	v_lshlrev_b32_sdwa v7, v82, v237 dst_sel:DWORD dst_unused:UNUSED_PAD src0_sel:DWORD src1_sel:BYTE_0
	v_accvgpr_mov_b32 a12, a6
	v_accvgpr_write_b32 a11, v201
	v_add_f64 v[8:9], v[78:79], v[8:9]
	v_fma_f64 v[78:79], s[18:19], v[66:67], v[76:77]
	v_fma_f64 v[66:67], v[66:67], s[18:19], -v[76:77]
	v_add_f64 v[4:5], v[4:5], v[24:25]
	v_add3_u32 v128, v6, v7, v174
	v_add_f64 v[10:11], v[80:81], v[10:11]
	v_add_f64 v[64:65], v[78:79], v[64:65]
	;; [unrolled: 1-line block ×3, first 2 shown]
	ds_write2_b64 v128, v[4:5], v[22:23] offset1:7
	ds_write2_b64 v128, v[30:31], v[34:35] offset0:14 offset1:21
	ds_write2_b64 v128, v[54:55], v[16:17] offset0:28 offset1:35
	;; [unrolled: 1-line block ×7, first 2 shown]
	ds_write_b64 v128, v[32:33] offset:896
	s_and_saveexec_b64 s[54:55], s[0:1]
	s_cbranch_execz .LBB0_16
; %bb.15:
	v_accvgpr_read_b32 v10, a28
	v_accvgpr_read_b32 v12, a36
	v_accvgpr_read_b32 v11, a29
	v_accvgpr_read_b32 v13, a37
	v_add_f64 v[32:33], v[10:11], -v[12:13]
	v_accvgpr_read_b32 v12, a26
	v_accvgpr_read_b32 v14, a42
	v_accvgpr_read_b32 v13, a27
	v_accvgpr_read_b32 v15, a43
	v_add_f64 v[34:35], v[12:13], -v[14:15]
	;; [unrolled: 5-line block ×3, first 2 shown]
	v_accvgpr_read_b32 v16, a38
	v_accvgpr_read_b32 v18, a56
	;; [unrolled: 1-line block ×7, first 2 shown]
	v_add_f64 v[54:55], v[16:17], -v[18:19]
	v_accvgpr_read_b32 v18, a60
	v_accvgpr_read_b32 v23, a63
	v_add_f64 v[66:67], v[36:37], -v[248:249]
	v_accvgpr_read_b32 v19, a61
	v_add_f64 v[62:63], v[168:169], -v[22:23]
	v_add_f64 v[22:23], v[108:109], v[246:247]
	v_mul_f64 v[72:73], v[66:67], s[34:35]
	v_add_f64 v[60:61], v[152:153], -v[18:19]
	v_add_f64 v[18:19], v[104:105], v[208:209]
	v_mul_f64 v[252:253], v[62:63], s[44:45]
	v_fma_f64 v[46:47], v[22:23], s[36:37], -v[72:73]
	v_add_f64 v[30:31], v[210:211], -v[254:255]
	v_add_f64 v[16:17], v[88:89], v[86:87]
	v_mov_b64_e32 v[98:99], v[210:211]
	v_mul_f64 v[210:211], v[60:61], s[28:29]
	v_fma_f64 v[44:45], v[18:19], s[10:11], -v[252:253]
	v_add_f64 v[46:47], v[162:163], v[46:47]
	v_add_f64 v[14:15], v[164:165], v[84:85]
	v_mul_f64 v[188:189], v[54:55], s[46:47]
	v_fma_f64 v[250:251], v[16:17], s[30:31], -v[210:211]
	v_add_f64 v[44:45], v[44:45], v[46:47]
	v_add_f64 v[12:13], v[150:151], v[74:75]
	;; [unrolled: 4-line block ×5, first 2 shown]
	v_mul_f64 v[28:29], v[30:31], s[52:53]
	v_fma_f64 v[76:77], v[8:9], s[22:23], -v[64:65]
	v_add_f64 v[44:45], v[80:81], v[44:45]
	v_fma_f64 v[4:5], v[6:7], s[18:19], -v[28:29]
	v_add_f64 v[44:45], v[76:77], v[44:45]
	v_fmac_f64_e32 v[72:73], s[36:37], v[22:23]
	v_add_f64 v[4:5], v[4:5], v[44:45]
	v_fmac_f64_e32 v[252:253], s[10:11], v[18:19]
	v_add_f64 v[44:45], v[162:163], v[72:73]
	v_mul_f64 v[70:71], v[66:67], s[28:29]
	v_accvgpr_write_b32 a4, v152
	v_fmac_f64_e32 v[210:211], s[30:31], v[16:17]
	v_add_f64 v[44:45], v[252:253], v[44:45]
	v_mul_f64 v[250:251], v[62:63], s[40:41]
	v_accvgpr_write_b32 a5, v153
	v_fma_f64 v[152:153], v[22:23], s[30:31], -v[70:71]
	v_fmac_f64_e32 v[188:189], s[14:15], v[14:15]
	v_add_f64 v[44:45], v[210:211], v[44:45]
	v_mul_f64 v[190:191], v[60:61], s[12:13]
	v_fma_f64 v[252:253], v[18:19], s[16:17], -v[250:251]
	v_add_f64 v[152:153], v[162:163], v[152:153]
	v_fmac_f64_e32 v[132:133], s[26:27], v[12:13]
	v_add_f64 v[44:45], v[188:189], v[44:45]
	v_mul_f64 v[166:167], v[54:55], s[50:51]
	v_fma_f64 v[210:211], v[16:17], s[18:19], -v[190:191]
	v_add_f64 v[152:153], v[252:253], v[152:153]
	;; [unrolled: 5-line block ×5, first 2 shown]
	v_add_f64 v[28:29], v[28:29], v[44:45]
	v_mul_f64 v[44:45], v[30:31], s[20:21]
	v_fma_f64 v[64:65], v[8:9], s[14:15], -v[72:73]
	v_add_f64 v[78:79], v[78:79], v[132:133]
	v_fma_f64 v[46:47], v[6:7], s[22:23], -v[44:45]
	v_add_f64 v[64:65], v[64:65], v[78:79]
	v_fmac_f64_e32 v[70:71], s[30:31], v[22:23]
	v_add_f64 v[64:65], v[46:47], v[64:65]
	v_fmac_f64_e32 v[250:251], s[16:17], v[18:19]
	v_add_f64 v[46:47], v[162:163], v[70:71]
	v_mul_f64 v[40:41], v[66:67], s[24:25]
	v_accvgpr_write_b32 a6, v168
	v_fmac_f64_e32 v[190:191], s[18:19], v[16:17]
	v_add_f64 v[46:47], v[250:251], v[46:47]
	v_mul_f64 v[250:251], v[62:63], s[38:39]
	v_accvgpr_write_b32 a7, v169
	v_fma_f64 v[168:169], v[22:23], s[26:27], -v[40:41]
	v_fmac_f64_e32 v[166:167], s[26:27], v[14:15]
	v_add_f64 v[46:47], v[190:191], v[46:47]
	v_mul_f64 v[190:191], v[60:61], s[2:3]
	v_fma_f64 v[252:253], v[18:19], s[22:23], -v[250:251]
	v_add_f64 v[168:169], v[162:163], v[168:169]
	v_fmac_f64_e32 v[80:81], s[10:11], v[12:13]
	v_add_f64 v[46:47], v[166:167], v[46:47]
	v_mul_f64 v[166:167], v[54:55], s[28:29]
	v_fma_f64 v[210:211], v[16:17], s[10:11], -v[190:191]
	v_add_f64 v[168:169], v[252:253], v[168:169]
	v_fmac_f64_e32 v[40:41], s[26:27], v[22:23]
	v_fmac_f64_e32 v[76:77], s[36:37], v[10:11]
	v_add_f64 v[46:47], v[80:81], v[46:47]
	v_mul_f64 v[132:133], v[52:53], s[52:53]
	v_fma_f64 v[188:189], v[14:15], s[30:31], -v[166:167]
	v_add_f64 v[168:169], v[210:211], v[168:169]
	v_fmac_f64_e32 v[250:251], s[22:23], v[18:19]
	v_add_f64 v[40:41], v[162:163], v[40:41]
	v_mul_f64 v[42:43], v[66:67], s[20:21]
	v_fmac_f64_e32 v[72:73], s[14:15], v[8:9]
	v_add_f64 v[46:47], v[76:77], v[46:47]
	v_mul_f64 v[80:81], v[34:35], s[6:7]
	v_fma_f64 v[152:153], v[12:13], s[18:19], -v[132:133]
	v_add_f64 v[168:169], v[188:189], v[168:169]
	v_fmac_f64_e32 v[190:191], s[10:11], v[16:17]
	v_add_f64 v[40:41], v[250:251], v[40:41]
	v_mul_f64 v[250:251], v[62:63], s[42:43]
	v_fma_f64 v[36:37], v[22:23], s[22:23], -v[42:43]
	v_fmac_f64_e32 v[42:43], s[22:23], v[22:23]
	v_fmac_f64_e32 v[44:45], s[22:23], v[6:7]
	v_add_f64 v[46:47], v[72:73], v[46:47]
	v_mul_f64 v[70:71], v[32:33], s[34:35]
	v_fma_f64 v[78:79], v[10:11], s[14:15], -v[80:81]
	v_add_f64 v[152:153], v[152:153], v[168:169]
	v_fmac_f64_e32 v[166:167], s[30:31], v[14:15]
	v_add_f64 v[40:41], v[190:191], v[40:41]
	v_mul_f64 v[190:191], v[60:61], s[46:47]
	v_fma_f64 v[252:253], v[18:19], s[30:31], -v[250:251]
	v_fmac_f64_e32 v[250:251], s[30:31], v[18:19]
	v_add_f64 v[42:43], v[162:163], v[42:43]
	v_mul_f64 v[38:39], v[66:67], s[12:13]
	v_add_f64 v[76:77], v[44:45], v[46:47]
	v_mul_f64 v[44:45], v[30:31], s[40:41]
	v_fma_f64 v[72:73], v[8:9], s[36:37], -v[70:71]
	v_add_f64 v[78:79], v[78:79], v[152:153]
	v_fmac_f64_e32 v[132:133], s[18:19], v[12:13]
	v_add_f64 v[40:41], v[166:167], v[40:41]
	v_mul_f64 v[168:169], v[54:55], s[8:9]
	v_fma_f64 v[210:211], v[16:17], s[14:15], -v[190:191]
	v_add_f64 v[36:37], v[162:163], v[36:37]
	v_fmac_f64_e32 v[190:191], s[14:15], v[16:17]
	v_add_f64 v[42:43], v[250:251], v[42:43]
	v_mul_f64 v[250:251], v[62:63], s[34:35]
	v_mov_b64_e32 v[122:123], v[254:255]
	v_fma_f64 v[254:255], v[22:23], s[18:19], -v[38:39]
	v_fma_f64 v[46:47], v[6:7], s[16:17], -v[44:45]
	v_add_f64 v[72:73], v[72:73], v[78:79]
	v_fmac_f64_e32 v[80:81], s[14:15], v[10:11]
	v_add_f64 v[40:41], v[132:133], v[40:41]
	v_mul_f64 v[152:153], v[52:53], s[34:35]
	v_fma_f64 v[188:189], v[14:15], s[16:17], -v[168:169]
	v_add_f64 v[36:37], v[252:253], v[36:37]
	v_fmac_f64_e32 v[168:169], s[16:17], v[14:15]
	v_add_f64 v[42:43], v[190:191], v[42:43]
	v_mul_f64 v[190:191], v[60:61], s[38:39]
	v_fma_f64 v[252:253], v[18:19], s[36:37], -v[250:251]
	v_add_f64 v[254:255], v[162:163], v[254:255]
	v_fmac_f64_e32 v[38:39], s[18:19], v[22:23]
	v_add_f64 v[78:79], v[46:47], v[72:73]
	v_fmac_f64_e32 v[70:71], s[36:37], v[8:9]
	v_add_f64 v[40:41], v[80:81], v[40:41]
	v_mul_f64 v[72:73], v[34:35], s[52:53]
	v_fma_f64 v[166:167], v[12:13], s[36:37], -v[152:153]
	v_add_f64 v[36:37], v[210:211], v[36:37]
	v_fmac_f64_e32 v[152:153], s[36:37], v[12:13]
	v_add_f64 v[42:43], v[168:169], v[42:43]
	v_mul_f64 v[168:169], v[54:55], s[44:45]
	v_fma_f64 v[210:211], v[16:17], s[22:23], -v[190:191]
	v_add_f64 v[252:253], v[252:253], v[254:255]
	v_fmac_f64_e32 v[250:251], s[36:37], v[18:19]
	v_add_f64 v[38:39], v[162:163], v[38:39]
	v_mul_f64 v[110:111], v[66:67], s[8:9]
	v_fmac_f64_e32 v[44:45], s[16:17], v[6:7]
	v_add_f64 v[40:41], v[70:71], v[40:41]
	v_mul_f64 v[46:47], v[32:33], s[2:3]
	v_fma_f64 v[132:133], v[10:11], s[18:19], -v[72:73]
	v_add_f64 v[36:37], v[188:189], v[36:37]
	v_fmac_f64_e32 v[72:73], s[18:19], v[10:11]
	v_add_f64 v[42:43], v[152:153], v[42:43]
	v_mul_f64 v[152:153], v[52:53], s[8:9]
	v_fma_f64 v[188:189], v[14:15], s[10:11], -v[168:169]
	v_add_f64 v[210:211], v[210:211], v[252:253]
	v_fmac_f64_e32 v[190:191], s[22:23], v[16:17]
	v_add_f64 v[38:39], v[250:251], v[38:39]
	v_mul_f64 v[252:253], v[62:63], s[24:25]
	v_mov_b32_e32 v83, v179
	v_fma_f64 v[178:179], v[22:23], s[16:17], -v[110:111]
	v_add_f64 v[80:81], v[44:45], v[40:41]
	v_mul_f64 v[40:41], v[30:31], s[24:25]
	v_fma_f64 v[70:71], v[8:9], s[10:11], -v[46:47]
	v_add_f64 v[36:37], v[166:167], v[36:37]
	v_fmac_f64_e32 v[46:47], s[10:11], v[8:9]
	v_add_f64 v[42:43], v[72:73], v[42:43]
	v_mul_f64 v[72:73], v[34:35], s[28:29]
	v_fma_f64 v[166:167], v[12:13], s[16:17], -v[152:153]
	v_add_f64 v[188:189], v[188:189], v[210:211]
	v_fmac_f64_e32 v[168:169], s[10:11], v[14:15]
	v_add_f64 v[38:39], v[190:191], v[38:39]
	v_mul_f64 v[210:211], v[60:61], s[48:49]
	v_fma_f64 v[254:255], v[18:19], s[26:27], -v[252:253]
	v_add_f64 v[178:179], v[162:163], v[178:179]
	v_fma_f64 v[44:45], v[6:7], s[26:27], -v[40:41]
	v_add_f64 v[36:37], v[132:133], v[36:37]
	v_fmac_f64_e32 v[40:41], s[26:27], v[6:7]
	v_add_f64 v[42:43], v[46:47], v[42:43]
	v_mul_f64 v[46:47], v[32:33], s[50:51]
	v_fma_f64 v[132:133], v[10:11], s[30:31], -v[72:73]
	v_add_f64 v[166:167], v[166:167], v[188:189]
	v_fmac_f64_e32 v[152:153], s[16:17], v[12:13]
	v_add_f64 v[38:39], v[168:169], v[38:39]
	v_mul_f64 v[188:189], v[54:55], s[38:39]
	v_fma_f64 v[250:251], v[16:17], s[36:37], -v[210:211]
	v_add_f64 v[178:179], v[254:255], v[178:179]
	v_add_f64 v[36:37], v[70:71], v[36:37]
	;; [unrolled: 1-line block ×3, first 2 shown]
	v_mul_f64 v[42:43], v[30:31], s[46:47]
	v_fma_f64 v[70:71], v[8:9], s[26:27], -v[46:47]
	v_add_f64 v[132:133], v[132:133], v[166:167]
	v_fmac_f64_e32 v[72:73], s[30:31], v[10:11]
	v_add_f64 v[38:39], v[152:153], v[38:39]
	v_mul_f64 v[166:167], v[52:53], s[46:47]
	v_fma_f64 v[190:191], v[14:15], s[22:23], -v[188:189]
	v_add_f64 v[178:179], v[250:251], v[178:179]
	v_add_f64 v[36:37], v[44:45], v[36:37]
	v_fma_f64 v[44:45], v[6:7], s[14:15], -v[42:43]
	v_add_f64 v[70:71], v[70:71], v[132:133]
	v_fmac_f64_e32 v[46:47], s[26:27], v[8:9]
	v_add_f64 v[38:39], v[72:73], v[38:39]
	v_mul_f64 v[132:133], v[34:35], s[2:3]
	v_fma_f64 v[168:169], v[12:13], s[14:15], -v[166:167]
	v_add_f64 v[178:179], v[190:191], v[178:179]
	v_add_f64 v[44:45], v[44:45], v[70:71]
	v_fmac_f64_e32 v[42:43], s[14:15], v[6:7]
	v_add_f64 v[38:39], v[46:47], v[38:39]
	v_mul_f64 v[70:71], v[32:33], s[12:13]
	v_fma_f64 v[152:153], v[10:11], s[10:11], -v[132:133]
	v_add_f64 v[168:169], v[168:169], v[178:179]
	v_add_f64 v[38:39], v[42:43], v[38:39]
	v_mul_f64 v[42:43], v[30:31], s[28:29]
	v_fma_f64 v[72:73], v[8:9], s[18:19], -v[70:71]
	v_add_f64 v[152:153], v[152:153], v[168:169]
	v_fma_f64 v[46:47], v[6:7], s[30:31], -v[42:43]
	v_add_f64 v[72:73], v[72:73], v[152:153]
	v_fmac_f64_e32 v[110:111], s[16:17], v[22:23]
	v_add_f64 v[46:47], v[46:47], v[72:73]
	v_fmac_f64_e32 v[252:253], s[26:27], v[18:19]
	v_add_f64 v[72:73], v[162:163], v[110:111]
	v_mov_b64_e32 v[144:145], v[248:249]
	v_mul_f64 v[248:249], v[66:67], s[6:7]
	v_fmac_f64_e32 v[210:211], s[36:37], v[16:17]
	v_add_f64 v[72:73], v[252:253], v[72:73]
	v_mul_f64 v[252:253], v[62:63], s[12:13]
	v_mov_b64_e32 v[118:119], v[114:115]
	v_fma_f64 v[114:115], v[22:23], s[14:15], -v[248:249]
	v_fmac_f64_e32 v[188:189], s[22:23], v[14:15]
	v_add_f64 v[72:73], v[210:211], v[72:73]
	v_mul_f64 v[210:211], v[60:61], s[24:25]
	v_fma_f64 v[254:255], v[18:19], s[18:19], -v[252:253]
	v_add_f64 v[114:115], v[162:163], v[114:115]
	v_fmac_f64_e32 v[166:167], s[14:15], v[12:13]
	v_add_f64 v[72:73], v[188:189], v[72:73]
	v_mul_f64 v[188:189], v[54:55], s[34:35]
	v_fma_f64 v[250:251], v[16:17], s[26:27], -v[210:211]
	v_add_f64 v[114:115], v[254:255], v[114:115]
	;; [unrolled: 5-line block ×5, first 2 shown]
	v_add_f64 v[42:43], v[42:43], v[70:71]
	v_mul_f64 v[70:71], v[30:31], s[44:45]
	v_fma_f64 v[132:133], v[8:9], s[16:17], -v[110:111]
	v_add_f64 v[114:115], v[166:167], v[114:115]
	v_fma_f64 v[72:73], v[6:7], s[10:11], -v[70:71]
	v_add_f64 v[114:115], v[132:133], v[114:115]
	v_fmac_f64_e32 v[248:249], s[14:15], v[22:23]
	v_add_f64 v[72:73], v[72:73], v[114:115]
	v_fmac_f64_e32 v[252:253], s[18:19], v[18:19]
	;; [unrolled: 2-line block ×7, first 2 shown]
	v_add_f64 v[114:115], v[152:153], v[114:115]
	v_mul_f64 v[32:33], v[32:33], s[28:29]
	v_add_f64 v[110:111], v[110:111], v[114:115]
	v_fma_f64 v[114:115], v[8:9], s[30:31], -v[32:33]
	v_fmac_f64_e32 v[32:33], s[30:31], v[8:9]
	v_add_f64 v[8:9], v[162:163], v[108:109]
	v_add_f64 v[8:9], v[8:9], v[104:105]
	;; [unrolled: 1-line block ×6, first 2 shown]
	v_mul_f64 v[66:67], v[66:67], s[2:3]
	v_add_f64 v[8:9], v[8:9], v[48:49]
	v_fmac_f64_e32 v[70:71], s[10:11], v[6:7]
	v_mul_f64 v[30:31], v[30:31], s[34:35]
	v_mul_f64 v[62:63], v[62:63], s[6:7]
	v_fma_f64 v[188:189], v[22:23], s[10:11], -v[66:67]
	v_fmac_f64_e32 v[66:67], s[10:11], v[22:23]
	v_add_f64 v[8:9], v[8:9], v[50:51]
	v_add_f64 v[70:71], v[70:71], v[110:111]
	v_fma_f64 v[110:111], v[6:7], s[36:37], -v[30:31]
	v_mul_f64 v[60:61], v[60:61], s[8:9]
	v_fma_f64 v[178:179], v[18:19], s[14:15], -v[62:63]
	v_fmac_f64_e32 v[30:31], s[36:37], v[6:7]
	v_fmac_f64_e32 v[62:63], s[14:15], v[18:19]
	v_add_f64 v[6:7], v[162:163], v[66:67]
	v_add_f64 v[8:9], v[8:9], v[68:69]
	v_mul_f64 v[54:55], v[54:55], s[12:13]
	v_fma_f64 v[168:169], v[16:17], s[16:17], -v[60:61]
	v_add_f64 v[188:189], v[162:163], v[188:189]
	v_fmac_f64_e32 v[60:61], s[16:17], v[16:17]
	v_add_f64 v[6:7], v[62:63], v[6:7]
	v_add_f64 v[8:9], v[8:9], v[56:57]
	v_mul_f64 v[52:53], v[52:53], s[20:21]
	v_fma_f64 v[166:167], v[14:15], s[18:19], -v[54:55]
	v_add_f64 v[178:179], v[178:179], v[188:189]
	;; [unrolled: 6-line block ×3, first 2 shown]
	v_fmac_f64_e32 v[52:53], s[22:23], v[12:13]
	v_add_f64 v[6:7], v[54:55], v[6:7]
	v_add_f64 v[8:9], v[8:9], v[74:75]
	v_fma_f64 v[132:133], v[10:11], s[26:27], -v[34:35]
	v_add_f64 v[166:167], v[166:167], v[168:169]
	v_fmac_f64_e32 v[34:35], s[26:27], v[10:11]
	v_add_f64 v[6:7], v[52:53], v[6:7]
	v_add_f64 v[8:9], v[8:9], v[84:85]
	;; [unrolled: 1-line block ×5, first 2 shown]
	v_lshlrev_b32_sdwa v10, v82, v90 dst_sel:DWORD dst_unused:UNUSED_PAD src0_sel:DWORD src1_sel:BYTE_0
	v_add_f64 v[132:133], v[132:133], v[152:153]
	v_add_f64 v[6:7], v[32:33], v[6:7]
	;; [unrolled: 1-line block ×3, first 2 shown]
	v_add3_u32 v10, 0, v10, v174
	v_accvgpr_read_b32 v169, a7
	v_accvgpr_read_b32 v153, a5
	v_add_f64 v[114:115], v[114:115], v[132:133]
	v_add_f64 v[6:7], v[30:31], v[6:7]
	;; [unrolled: 1-line block ×3, first 2 shown]
	v_add_u32_e32 v11, 0x800, v10
	v_mov_b64_e32 v[254:255], v[122:123]
	v_mov_b64_e32 v[248:249], v[144:145]
	;; [unrolled: 1-line block ×3, first 2 shown]
	v_mov_b32_e32 v179, v83
	v_accvgpr_read_b32 v168, a6
	v_accvgpr_read_b32 v152, a4
	v_add_f64 v[110:111], v[110:111], v[114:115]
	v_mov_b64_e32 v[114:115], v[118:119]
	ds_write2_b64 v11, v[8:9], v[6:7] offset0:220 offset1:227
	ds_write2_b64 v11, v[70:71], v[42:43] offset0:234 offset1:241
	;; [unrolled: 1-line block ×3, first 2 shown]
	v_add_u32_e32 v6, 0x1000, v10
	ds_write2_b64 v6, v[80:81], v[76:77] offset0:6 offset1:13
	ds_write2_b64 v6, v[28:29], v[4:5] offset0:20 offset1:27
	ds_write2_b64 v6, v[64:65], v[78:79] offset0:34 offset1:41
	ds_write2_b64 v6, v[36:37], v[44:45] offset0:48 offset1:55
	ds_write2_b64 v6, v[46:47], v[72:73] offset0:62 offset1:69
	ds_write_b64 v10, v[110:111] offset:4704
.LBB0_16:
	s_or_b64 exec, exec, s[54:55]
	v_accvgpr_read_b32 v40, a58
	v_add_f64 v[4:5], v[172:173], v[2:3]
	v_accvgpr_read_b32 v41, a59
	v_accvgpr_read_b32 v67, a55
	v_add_f64 v[4:5], v[4:5], v[40:41]
	v_accvgpr_read_b32 v66, a54
	;; [unrolled: 3-line block ×8, first 2 shown]
	v_add_f64 v[4:5], v[4:5], v[52:53]
	v_add_f64 v[4:5], v[4:5], v[196:197]
	;; [unrolled: 1-line block ×9, first 2 shown]
	v_add_f64 v[4:5], v[20:21], -v[242:243]
	v_mul_f64 v[6:7], v[2:3], s[10:11]
	v_mul_f64 v[10:11], v[2:3], s[14:15]
	;; [unrolled: 1-line block ×8, first 2 shown]
	v_fma_f64 v[8:9], s[44:45], v[4:5], v[6:7]
	v_fmac_f64_e32 v[6:7], s[2:3], v[4:5]
	v_fma_f64 v[12:13], s[46:47], v[4:5], v[10:11]
	v_fmac_f64_e32 v[10:11], s[6:7], v[4:5]
	;; [unrolled: 2-line block ×8, first 2 shown]
	v_add_f64 v[4:5], v[40:41], v[240:241]
	v_add_f64 v[40:41], v[238:239], -v[214:215]
	v_mul_f64 v[42:43], v[4:5], s[14:15]
	v_add_f64 v[6:7], v[172:173], v[6:7]
	v_fma_f64 v[44:45], s[46:47], v[40:41], v[42:43]
	v_fmac_f64_e32 v[42:43], s[6:7], v[40:41]
	v_add_f64 v[8:9], v[172:173], v[8:9]
	v_add_f64 v[6:7], v[42:43], v[6:7]
	v_mul_f64 v[42:43], v[4:5], s[18:19]
	v_add_f64 v[10:11], v[172:173], v[10:11]
	v_add_f64 v[8:9], v[44:45], v[8:9]
	v_fma_f64 v[44:45], s[52:53], v[40:41], v[42:43]
	v_fmac_f64_e32 v[42:43], s[12:13], v[40:41]
	v_add_f64 v[12:13], v[172:173], v[12:13]
	v_add_f64 v[10:11], v[42:43], v[10:11]
	v_mul_f64 v[42:43], v[4:5], s[26:27]
	v_add_f64 v[14:15], v[172:173], v[14:15]
	;; [unrolled: 7-line block ×6, first 2 shown]
	v_add_f64 v[32:33], v[44:45], v[32:33]
	v_fma_f64 v[44:45], s[8:9], v[40:41], v[42:43]
	v_fmac_f64_e32 v[42:43], s[40:41], v[40:41]
	v_mul_f64 v[4:5], v[4:5], s[10:11]
	v_add_f64 v[2:3], v[172:173], v[2:3]
	v_add_f64 v[34:35], v[42:43], v[34:35]
	v_fma_f64 v[42:43], s[2:3], v[40:41], v[4:5]
	v_fmac_f64_e32 v[4:5], s[44:45], v[40:41]
	v_add_f64 v[38:39], v[172:173], v[38:39]
	v_add_f64 v[2:3], v[4:5], v[2:3]
	;; [unrolled: 1-line block ×5, first 2 shown]
	v_add_f64 v[40:41], v[230:231], -v[206:207]
	v_mul_f64 v[42:43], v[4:5], s[16:17]
	v_add_f64 v[36:37], v[44:45], v[36:37]
	v_fma_f64 v[44:45], s[40:41], v[40:41], v[42:43]
	v_fmac_f64_e32 v[42:43], s[8:9], v[40:41]
	v_add_f64 v[6:7], v[42:43], v[6:7]
	v_mul_f64 v[42:43], v[4:5], s[26:27]
	v_add_f64 v[8:9], v[44:45], v[8:9]
	v_fma_f64 v[44:45], s[50:51], v[40:41], v[42:43]
	v_fmac_f64_e32 v[42:43], s[24:25], v[40:41]
	v_add_f64 v[10:11], v[42:43], v[10:11]
	v_mul_f64 v[42:43], v[4:5], s[36:37]
	v_add_f64 v[12:13], v[44:45], v[12:13]
	v_fma_f64 v[44:45], s[34:35], v[40:41], v[42:43]
	v_fmac_f64_e32 v[42:43], s[48:49], v[40:41]
	v_add_f64 v[14:15], v[42:43], v[14:15]
	v_mul_f64 v[42:43], v[4:5], s[22:23]
	v_add_f64 v[16:17], v[44:45], v[16:17]
	v_fma_f64 v[44:45], s[20:21], v[40:41], v[42:43]
	v_fmac_f64_e32 v[42:43], s[38:39], v[40:41]
	v_add_f64 v[18:19], v[42:43], v[18:19]
	v_mul_f64 v[42:43], v[4:5], s[14:15]
	v_add_f64 v[20:21], v[44:45], v[20:21]
	v_fma_f64 v[44:45], s[6:7], v[40:41], v[42:43]
	v_fmac_f64_e32 v[42:43], s[46:47], v[40:41]
	v_add_f64 v[22:23], v[42:43], v[22:23]
	v_mul_f64 v[42:43], v[4:5], s[10:11]
	v_add_f64 v[28:29], v[44:45], v[28:29]
	v_fma_f64 v[44:45], s[44:45], v[40:41], v[42:43]
	v_fmac_f64_e32 v[42:43], s[2:3], v[40:41]
	v_add_f64 v[30:31], v[42:43], v[30:31]
	v_mul_f64 v[42:43], v[4:5], s[18:19]
	v_add_f64 v[32:33], v[44:45], v[32:33]
	v_fma_f64 v[44:45], s[52:53], v[40:41], v[42:43]
	v_fmac_f64_e32 v[42:43], s[12:13], v[40:41]
	v_mul_f64 v[4:5], v[4:5], s[30:31]
	v_add_f64 v[34:35], v[42:43], v[34:35]
	v_fma_f64 v[42:43], s[42:43], v[40:41], v[4:5]
	v_fmac_f64_e32 v[4:5], s[28:29], v[40:41]
	v_add_f64 v[2:3], v[4:5], v[2:3]
	v_add_f64 v[4:5], v[64:65], v[180:181]
	v_add_f64 v[38:39], v[42:43], v[38:39]
	v_add_f64 v[40:41], v[226:227], -v[182:183]
	v_mul_f64 v[42:43], v[4:5], s[18:19]
	v_add_f64 v[36:37], v[44:45], v[36:37]
	v_fma_f64 v[44:45], s[52:53], v[40:41], v[42:43]
	v_fmac_f64_e32 v[42:43], s[12:13], v[40:41]
	v_add_f64 v[6:7], v[42:43], v[6:7]
	v_mul_f64 v[42:43], v[4:5], s[36:37]
	v_add_f64 v[8:9], v[44:45], v[8:9]
	v_fma_f64 v[44:45], s[48:49], v[40:41], v[42:43]
	v_fmac_f64_e32 v[42:43], s[34:35], v[40:41]
	v_add_f64 v[10:11], v[42:43], v[10:11]
	v_mul_f64 v[42:43], v[4:5], s[22:23]
	v_add_f64 v[12:13], v[44:45], v[12:13]
	v_fma_f64 v[44:45], s[20:21], v[40:41], v[42:43]
	v_fmac_f64_e32 v[42:43], s[38:39], v[40:41]
	v_add_f64 v[14:15], v[42:43], v[14:15]
	v_mul_f64 v[42:43], v[4:5], s[10:11]
	v_add_f64 v[16:17], v[44:45], v[16:17]
	v_fma_f64 v[44:45], s[2:3], v[40:41], v[42:43]
	v_fmac_f64_e32 v[42:43], s[44:45], v[40:41]
	v_add_f64 v[18:19], v[42:43], v[18:19]
	v_mul_f64 v[42:43], v[4:5], s[16:17]
	v_add_f64 v[20:21], v[44:45], v[20:21]
	v_fma_f64 v[44:45], s[40:41], v[40:41], v[42:43]
	v_fmac_f64_e32 v[42:43], s[8:9], v[40:41]
	v_add_f64 v[22:23], v[42:43], v[22:23]
	v_mul_f64 v[42:43], v[4:5], s[30:31]
	v_add_f64 v[28:29], v[44:45], v[28:29]
	v_fma_f64 v[44:45], s[42:43], v[40:41], v[42:43]
	v_fmac_f64_e32 v[42:43], s[28:29], v[40:41]
	v_add_f64 v[30:31], v[42:43], v[30:31]
	v_mul_f64 v[42:43], v[4:5], s[26:27]
	v_add_f64 v[32:33], v[44:45], v[32:33]
	v_fma_f64 v[44:45], s[24:25], v[40:41], v[42:43]
	v_fmac_f64_e32 v[42:43], s[50:51], v[40:41]
	v_mul_f64 v[4:5], v[4:5], s[14:15]
	v_add_f64 v[34:35], v[42:43], v[34:35]
	v_fma_f64 v[42:43], s[6:7], v[40:41], v[4:5]
	v_fmac_f64_e32 v[4:5], s[46:47], v[40:41]
	v_add_f64 v[2:3], v[4:5], v[2:3]
	v_add_f64 v[4:5], v[62:63], v[184:185]
	v_add_f64 v[38:39], v[42:43], v[38:39]
	v_add_f64 v[40:41], v[222:223], -v[186:187]
	v_mul_f64 v[42:43], v[4:5], s[22:23]
	v_add_f64 v[36:37], v[44:45], v[36:37]
	v_fma_f64 v[44:45], s[38:39], v[40:41], v[42:43]
	v_fmac_f64_e32 v[42:43], s[20:21], v[40:41]
	v_add_f64 v[6:7], v[42:43], v[6:7]
	v_mul_f64 v[42:43], v[4:5], s[30:31]
	v_add_f64 v[8:9], v[44:45], v[8:9]
	v_fma_f64 v[44:45], s[28:29], v[40:41], v[42:43]
	v_fmac_f64_e32 v[42:43], s[42:43], v[40:41]
	v_add_f64 v[10:11], v[42:43], v[10:11]
	v_mul_f64 v[42:43], v[4:5], s[14:15]
	v_add_f64 v[12:13], v[44:45], v[12:13]
	v_fma_f64 v[44:45], s[6:7], v[40:41], v[42:43]
	v_fmac_f64_e32 v[42:43], s[46:47], v[40:41]
	v_add_f64 v[14:15], v[42:43], v[14:15]
	v_mul_f64 v[42:43], v[4:5], s[16:17]
	v_add_f64 v[16:17], v[44:45], v[16:17]
	v_fma_f64 v[44:45], s[40:41], v[40:41], v[42:43]
	v_fmac_f64_e32 v[42:43], s[8:9], v[40:41]
	v_add_f64 v[18:19], v[42:43], v[18:19]
	v_mul_f64 v[42:43], v[4:5], s[36:37]
	v_add_f64 v[20:21], v[44:45], v[20:21]
	v_fma_f64 v[44:45], s[48:49], v[40:41], v[42:43]
	v_fmac_f64_e32 v[42:43], s[34:35], v[40:41]
	v_add_f64 v[22:23], v[42:43], v[22:23]
	v_mul_f64 v[42:43], v[4:5], s[18:19]
	v_add_f64 v[28:29], v[44:45], v[28:29]
	v_fma_f64 v[44:45], s[12:13], v[40:41], v[42:43]
	v_fmac_f64_e32 v[42:43], s[52:53], v[40:41]
	v_add_f64 v[30:31], v[42:43], v[30:31]
	v_mul_f64 v[42:43], v[4:5], s[10:11]
	v_add_f64 v[32:33], v[44:45], v[32:33]
	v_fma_f64 v[44:45], s[44:45], v[40:41], v[42:43]
	v_fmac_f64_e32 v[42:43], s[2:3], v[40:41]
	v_mul_f64 v[4:5], v[4:5], s[26:27]
	v_add_f64 v[34:35], v[42:43], v[34:35]
	v_fma_f64 v[42:43], s[50:51], v[40:41], v[4:5]
	v_fmac_f64_e32 v[4:5], s[24:25], v[40:41]
	v_add_f64 v[2:3], v[4:5], v[2:3]
	v_add_f64 v[4:5], v[60:61], v[92:93]
	v_add_f64 v[38:39], v[42:43], v[38:39]
	v_add_f64 v[40:41], v[218:219], -v[194:195]
	v_mul_f64 v[42:43], v[4:5], s[26:27]
	v_add_f64 v[36:37], v[44:45], v[36:37]
	v_fma_f64 v[44:45], s[50:51], v[40:41], v[42:43]
	v_fmac_f64_e32 v[42:43], s[24:25], v[40:41]
	v_add_f64 v[6:7], v[42:43], v[6:7]
	v_mul_f64 v[42:43], v[4:5], s[22:23]
	v_add_f64 v[8:9], v[44:45], v[8:9]
	v_fma_f64 v[44:45], s[20:21], v[40:41], v[42:43]
	v_fmac_f64_e32 v[42:43], s[38:39], v[40:41]
	v_add_f64 v[10:11], v[42:43], v[10:11]
	v_mul_f64 v[42:43], v[4:5], s[10:11]
	v_add_f64 v[12:13], v[44:45], v[12:13]
	v_fma_f64 v[44:45], s[44:45], v[40:41], v[42:43]
	v_fmac_f64_e32 v[42:43], s[2:3], v[40:41]
	v_add_f64 v[14:15], v[42:43], v[14:15]
	v_mul_f64 v[42:43], v[4:5], s[30:31]
	v_add_f64 v[16:17], v[44:45], v[16:17]
	v_fma_f64 v[44:45], s[42:43], v[40:41], v[42:43]
	v_fmac_f64_e32 v[42:43], s[28:29], v[40:41]
	v_add_f64 v[18:19], v[42:43], v[18:19]
	v_mul_f64 v[42:43], v[4:5], s[18:19]
	v_add_f64 v[20:21], v[44:45], v[20:21]
	v_fma_f64 v[44:45], s[12:13], v[40:41], v[42:43]
	v_fmac_f64_e32 v[42:43], s[52:53], v[40:41]
	v_add_f64 v[22:23], v[42:43], v[22:23]
	v_mul_f64 v[42:43], v[4:5], s[14:15]
	v_add_f64 v[28:29], v[44:45], v[28:29]
	v_fma_f64 v[44:45], s[46:47], v[40:41], v[42:43]
	v_fmac_f64_e32 v[42:43], s[6:7], v[40:41]
	v_add_f64 v[30:31], v[42:43], v[30:31]
	v_mul_f64 v[42:43], v[4:5], s[36:37]
	v_add_f64 v[32:33], v[44:45], v[32:33]
	v_fma_f64 v[44:45], s[48:49], v[40:41], v[42:43]
	v_fmac_f64_e32 v[42:43], s[34:35], v[40:41]
	v_mul_f64 v[4:5], v[4:5], s[16:17]
	v_add_f64 v[34:35], v[42:43], v[34:35]
	v_fma_f64 v[42:43], s[8:9], v[40:41], v[4:5]
	v_fmac_f64_e32 v[4:5], s[40:41], v[40:41]
	v_add_f64 v[2:3], v[4:5], v[2:3]
	v_add_f64 v[4:5], v[54:55], v[196:197]
	v_add_f64 v[38:39], v[42:43], v[38:39]
	v_add_f64 v[40:41], v[202:203], -v[198:199]
	v_mul_f64 v[42:43], v[4:5], s[30:31]
	v_add_f64 v[36:37], v[44:45], v[36:37]
	v_fma_f64 v[44:45], s[42:43], v[40:41], v[42:43]
	v_fmac_f64_e32 v[42:43], s[28:29], v[40:41]
	v_add_f64 v[6:7], v[42:43], v[6:7]
	v_mul_f64 v[42:43], v[4:5], s[16:17]
	v_add_f64 v[8:9], v[44:45], v[8:9]
	v_fma_f64 v[44:45], s[8:9], v[40:41], v[42:43]
	v_fmac_f64_e32 v[42:43], s[40:41], v[40:41]
	v_add_f64 v[10:11], v[42:43], v[10:11]
	v_mul_f64 v[42:43], v[4:5], s[18:19]
	v_add_f64 v[12:13], v[44:45], v[12:13]
	v_fma_f64 v[44:45], s[52:53], v[40:41], v[42:43]
	v_fmac_f64_e32 v[42:43], s[12:13], v[40:41]
	v_add_f64 v[14:15], v[42:43], v[14:15]
	v_mul_f64 v[42:43], v[4:5], s[26:27]
	v_add_f64 v[16:17], v[44:45], v[16:17]
	v_fma_f64 v[44:45], s[24:25], v[40:41], v[42:43]
	v_fmac_f64_e32 v[42:43], s[50:51], v[40:41]
	v_add_f64 v[18:19], v[42:43], v[18:19]
	v_mul_f64 v[42:43], v[4:5], s[10:11]
	v_add_f64 v[20:21], v[44:45], v[20:21]
	v_fma_f64 v[44:45], s[44:45], v[40:41], v[42:43]
	v_fmac_f64_e32 v[42:43], s[2:3], v[40:41]
	v_add_f64 v[22:23], v[42:43], v[22:23]
	v_mul_f64 v[42:43], v[4:5], s[36:37]
	v_add_f64 v[28:29], v[44:45], v[28:29]
	v_fma_f64 v[44:45], s[48:49], v[40:41], v[42:43]
	v_fmac_f64_e32 v[42:43], s[34:35], v[40:41]
	v_add_f64 v[30:31], v[42:43], v[30:31]
	v_mul_f64 v[42:43], v[4:5], s[14:15]
	v_add_f64 v[32:33], v[44:45], v[32:33]
	v_fma_f64 v[44:45], s[6:7], v[40:41], v[42:43]
	v_fmac_f64_e32 v[42:43], s[46:47], v[40:41]
	v_mul_f64 v[4:5], v[4:5], s[22:23]
	v_add_f64 v[34:35], v[42:43], v[34:35]
	v_fma_f64 v[42:43], s[38:39], v[40:41], v[4:5]
	v_fmac_f64_e32 v[4:5], s[20:21], v[40:41]
	v_add_f64 v[2:3], v[4:5], v[2:3]
	v_add_f64 v[4:5], v[46:47], v[52:53]
	v_add_f64 v[38:39], v[42:43], v[38:39]
	v_add_f64 v[40:41], v[176:177], -v[192:193]
	v_mul_f64 v[42:43], v[4:5], s[36:37]
	v_add_f64 v[36:37], v[44:45], v[36:37]
	v_fma_f64 v[44:45], s[48:49], v[40:41], v[42:43]
	v_fmac_f64_e32 v[42:43], s[34:35], v[40:41]
	v_add_f64 v[172:173], v[42:43], v[6:7]
	v_mul_f64 v[6:7], v[4:5], s[10:11]
	v_add_f64 v[176:177], v[44:45], v[8:9]
	v_fma_f64 v[8:9], s[2:3], v[40:41], v[6:7]
	v_fmac_f64_e32 v[6:7], s[44:45], v[40:41]
	v_add_f64 v[180:181], v[6:7], v[10:11]
	;; [unrolled: 5-line block ×6, first 2 shown]
	v_mul_f64 v[6:7], v[4:5], s[22:23]
	v_add_f64 v[196:197], v[8:9], v[32:33]
	v_fma_f64 v[8:9], s[38:39], v[40:41], v[6:7]
	v_fmac_f64_e32 v[6:7], s[20:21], v[40:41]
	v_mul_f64 v[4:5], v[4:5], s[18:19]
	v_add_f64 v[202:203], v[6:7], v[34:35]
	v_fma_f64 v[6:7], s[12:13], v[40:41], v[4:5]
	v_fmac_f64_e32 v[4:5], s[52:53], v[40:41]
	v_add_f64 v[206:207], v[4:5], v[2:3]
	v_accvgpr_read_b32 v4, a24
	v_add_f64 v[200:201], v[8:9], v[36:37]
	v_accvgpr_read_b32 v5, a25
	v_accvgpr_read_b32 v37, a23
	v_add_f64 v[2:3], v[0:1], v[4:5]
	v_accvgpr_read_b32 v36, a22
	;; [unrolled: 3-line block ×8, first 2 shown]
	v_add_f64 v[2:3], v[2:3], v[40:41]
	v_add_f64 v[2:3], v[2:3], v[114:115]
	;; [unrolled: 1-line block ×11, first 2 shown]
	v_add_f64 v[4:5], v[170:171], -v[24:25]
	v_mul_f64 v[6:7], v[2:3], s[10:11]
	v_mul_f64 v[10:11], v[2:3], s[14:15]
	;; [unrolled: 1-line block ×8, first 2 shown]
	v_fma_f64 v[8:9], s[44:45], v[4:5], v[6:7]
	v_fmac_f64_e32 v[6:7], s[2:3], v[4:5]
	v_fma_f64 v[12:13], s[46:47], v[4:5], v[10:11]
	v_fmac_f64_e32 v[10:11], s[6:7], v[4:5]
	;; [unrolled: 2-line block ×8, first 2 shown]
	v_add_f64 v[8:9], v[0:1], v[8:9]
	v_add_f64 v[6:7], v[0:1], v[6:7]
	;; [unrolled: 1-line block ×17, first 2 shown]
	v_add_f64 v[4:5], v[142:143], -v[148:149]
	v_mul_f64 v[36:37], v[2:3], s[14:15]
	v_fma_f64 v[38:39], s[46:47], v[4:5], v[36:37]
	v_fmac_f64_e32 v[36:37], s[6:7], v[4:5]
	v_add_f64 v[6:7], v[36:37], v[6:7]
	v_mul_f64 v[36:37], v[2:3], s[18:19]
	v_add_f64 v[8:9], v[38:39], v[8:9]
	v_fma_f64 v[38:39], s[52:53], v[4:5], v[36:37]
	v_fmac_f64_e32 v[36:37], s[12:13], v[4:5]
	v_add_f64 v[10:11], v[36:37], v[10:11]
	v_mul_f64 v[36:37], v[2:3], s[26:27]
	v_add_f64 v[12:13], v[38:39], v[12:13]
	v_fma_f64 v[38:39], s[50:51], v[4:5], v[36:37]
	v_fmac_f64_e32 v[36:37], s[24:25], v[4:5]
	v_add_f64 v[14:15], v[36:37], v[14:15]
	v_mul_f64 v[36:37], v[2:3], s[36:37]
	v_add_f64 v[16:17], v[38:39], v[16:17]
	v_fma_f64 v[38:39], s[48:49], v[4:5], v[36:37]
	v_fmac_f64_e32 v[36:37], s[34:35], v[4:5]
	v_add_f64 v[18:19], v[36:37], v[18:19]
	v_mul_f64 v[36:37], v[2:3], s[30:31]
	v_add_f64 v[20:21], v[38:39], v[20:21]
	v_fma_f64 v[38:39], s[28:29], v[4:5], v[36:37]
	v_fmac_f64_e32 v[36:37], s[42:43], v[4:5]
	v_add_f64 v[22:23], v[36:37], v[22:23]
	v_mul_f64 v[36:37], v[2:3], s[22:23]
	v_add_f64 v[24:25], v[38:39], v[24:25]
	v_fma_f64 v[38:39], s[20:21], v[4:5], v[36:37]
	v_fmac_f64_e32 v[36:37], s[38:39], v[4:5]
	v_add_f64 v[26:27], v[36:37], v[26:27]
	v_mul_f64 v[36:37], v[2:3], s[16:17]
	v_add_f64 v[28:29], v[38:39], v[28:29]
	v_fma_f64 v[38:39], s[8:9], v[4:5], v[36:37]
	v_fmac_f64_e32 v[36:37], s[40:41], v[4:5]
	v_mul_f64 v[2:3], v[2:3], s[10:11]
	v_add_f64 v[30:31], v[36:37], v[30:31]
	v_fma_f64 v[36:37], s[2:3], v[4:5], v[2:3]
	v_fmac_f64_e32 v[2:3], s[44:45], v[4:5]
	v_add_f64 v[0:1], v[2:3], v[0:1]
	v_add_f64 v[2:3], v[54:55], v[158:159]
	v_add_f64 v[34:35], v[36:37], v[34:35]
	v_add_f64 v[4:5], v[138:139], -v[160:161]
	v_mul_f64 v[36:37], v[2:3], s[16:17]
	v_add_f64 v[32:33], v[38:39], v[32:33]
	v_fma_f64 v[38:39], s[40:41], v[4:5], v[36:37]
	v_fmac_f64_e32 v[36:37], s[8:9], v[4:5]
	v_add_f64 v[6:7], v[36:37], v[6:7]
	v_mul_f64 v[36:37], v[2:3], s[26:27]
	v_add_f64 v[8:9], v[38:39], v[8:9]
	v_fma_f64 v[38:39], s[50:51], v[4:5], v[36:37]
	v_fmac_f64_e32 v[36:37], s[24:25], v[4:5]
	v_add_f64 v[10:11], v[36:37], v[10:11]
	v_mul_f64 v[36:37], v[2:3], s[36:37]
	v_add_f64 v[12:13], v[38:39], v[12:13]
	v_fma_f64 v[38:39], s[34:35], v[4:5], v[36:37]
	v_fmac_f64_e32 v[36:37], s[48:49], v[4:5]
	v_add_f64 v[14:15], v[36:37], v[14:15]
	v_mul_f64 v[36:37], v[2:3], s[22:23]
	v_add_f64 v[16:17], v[38:39], v[16:17]
	v_fma_f64 v[38:39], s[20:21], v[4:5], v[36:37]
	v_fmac_f64_e32 v[36:37], s[38:39], v[4:5]
	v_add_f64 v[18:19], v[36:37], v[18:19]
	v_mul_f64 v[36:37], v[2:3], s[14:15]
	v_add_f64 v[20:21], v[38:39], v[20:21]
	v_fma_f64 v[38:39], s[6:7], v[4:5], v[36:37]
	v_fmac_f64_e32 v[36:37], s[46:47], v[4:5]
	v_add_f64 v[22:23], v[36:37], v[22:23]
	v_mul_f64 v[36:37], v[2:3], s[10:11]
	v_add_f64 v[24:25], v[38:39], v[24:25]
	v_fma_f64 v[38:39], s[44:45], v[4:5], v[36:37]
	v_fmac_f64_e32 v[36:37], s[2:3], v[4:5]
	v_add_f64 v[26:27], v[36:37], v[26:27]
	v_mul_f64 v[36:37], v[2:3], s[18:19]
	v_add_f64 v[28:29], v[38:39], v[28:29]
	v_fma_f64 v[38:39], s[52:53], v[4:5], v[36:37]
	v_fmac_f64_e32 v[36:37], s[12:13], v[4:5]
	v_mul_f64 v[2:3], v[2:3], s[30:31]
	v_add_f64 v[30:31], v[36:37], v[30:31]
	v_fma_f64 v[36:37], s[42:43], v[4:5], v[2:3]
	v_fmac_f64_e32 v[2:3], s[28:29], v[4:5]
	v_add_f64 v[0:1], v[2:3], v[0:1]
	v_add_f64 v[2:3], v[52:53], v[156:157]
	v_add_f64 v[34:35], v[36:37], v[34:35]
	v_add_f64 v[4:5], v[130:131], -v[154:155]
	v_mul_f64 v[36:37], v[2:3], s[18:19]
	v_add_f64 v[32:33], v[38:39], v[32:33]
	;; [unrolled: 42-line block ×6, first 2 shown]
	v_fma_f64 v[38:39], s[48:49], v[4:5], v[36:37]
	v_fmac_f64_e32 v[36:37], s[34:35], v[4:5]
	v_add_f64 v[36:37], v[36:37], v[6:7]
	v_mul_f64 v[6:7], v[2:3], s[10:11]
	v_add_f64 v[38:39], v[38:39], v[8:9]
	v_fma_f64 v[8:9], s[2:3], v[4:5], v[6:7]
	v_fmac_f64_e32 v[6:7], s[44:45], v[4:5]
	v_add_f64 v[42:43], v[6:7], v[10:11]
	v_mul_f64 v[6:7], v[2:3], s[30:31]
	v_add_f64 v[40:41], v[8:9], v[12:13]
	;; [unrolled: 5-line block ×6, first 2 shown]
	v_fma_f64 v[8:9], s[38:39], v[4:5], v[6:7]
	v_fmac_f64_e32 v[6:7], s[20:21], v[4:5]
	v_mul_f64 v[2:3], v[2:3], s[18:19]
	v_add_f64 v[118:119], v[6:7], v[30:31]
	v_fma_f64 v[6:7], s[12:13], v[4:5], v[2:3]
	v_fmac_f64_e32 v[2:3], s[52:53], v[4:5]
	v_accvgpr_read_b32 v178, a52
	v_add_u32_e32 v76, 0x800, v236
	v_add_u32_e32 v20, 0x400, v236
	;; [unrolled: 1-line block ×3, first 2 shown]
	v_add_f64 v[116:117], v[8:9], v[32:33]
	v_add_f64 v[120:121], v[6:7], v[34:35]
	;; [unrolled: 1-line block ×3, first 2 shown]
	s_waitcnt lgkmcnt(0)
	; wave barrier
	s_waitcnt lgkmcnt(0)
	ds_read_b64 v[148:149], v178
	ds_read2_b64 v[0:3], v236 offset0:119 offset1:136
	ds_read2_b64 v[12:15], v236 offset0:221 offset1:238
	;; [unrolled: 1-line block ×17, first 2 shown]
	s_waitcnt lgkmcnt(0)
	; wave barrier
	s_waitcnt lgkmcnt(0)
	ds_write2_b64 v91, v[162:163], v[176:177] offset1:7
	ds_write2_b64 v91, v[182:183], v[186:187] offset0:14 offset1:21
	ds_write2_b64 v91, v[190:191], v[194:195] offset0:28 offset1:35
	;; [unrolled: 1-line block ×7, first 2 shown]
	ds_write_b64 v91, v[172:173] offset:896
	ds_write2_b64 v128, v[212:213], v[38:39] offset1:7
	ds_write2_b64 v128, v[40:41], v[44:45] offset0:14 offset1:21
	ds_write2_b64 v128, v[70:71], v[106:107] offset0:28 offset1:35
	;; [unrolled: 1-line block ×7, first 2 shown]
	ds_write_b64 v128, v[36:37] offset:896
	s_and_saveexec_b64 s[2:3], s[0:1]
	s_cbranch_execz .LBB0_18
; %bb.17:
	v_accvgpr_read_b32 v39, a9
	v_accvgpr_read_b32 v38, a8
	v_add_f64 v[36:37], v[124:125], v[38:39]
	v_add_f64 v[36:37], v[36:37], v[168:169]
	v_accvgpr_read_b32 v139, a39
	v_add_f64 v[36:37], v[36:37], v[152:153]
	v_accvgpr_read_b32 v138, a38
	v_accvgpr_read_b32 v135, a31
	v_add_f64 v[36:37], v[36:37], v[138:139]
	v_accvgpr_read_b32 v134, a30
	;; [unrolled: 3-line block ×4, first 2 shown]
	v_add_f64 v[36:37], v[36:37], v[132:133]
	v_add_f64 v[36:37], v[36:37], v[210:211]
	v_accvgpr_read_b32 v137, a37
	v_add_f64 v[36:37], v[36:37], v[254:255]
	v_accvgpr_read_b32 v136, a36
	v_accvgpr_read_b32 v141, a43
	v_add_f64 v[36:37], v[36:37], v[136:137]
	v_accvgpr_read_b32 v140, a42
	;; [unrolled: 3-line block ×6, first 2 shown]
	v_add_f64 v[36:37], v[36:37], v[128:129]
	s_mov_b32 s0, 0x370991
	s_mov_b32 s8, 0x75d4884
	;; [unrolled: 1-line block ×8, first 2 shown]
	v_add_f64 v[112:113], v[36:37], v[248:249]
	v_add_f64 v[36:37], v[38:39], v[248:249]
	s_mov_b32 s1, 0x3fedd6d0
	s_mov_b32 s6, 0x5d8e7cdc
	;; [unrolled: 1-line block ×16, first 2 shown]
	v_add_f64 v[38:39], v[108:109], -v[246:247]
	v_mul_f64 v[40:41], v[36:37], s[0:1]
	s_mov_b32 s7, 0x3fd71e95
	s_mov_b32 s13, 0xbfd71e95
	s_mov_b32 s12, s6
	v_mul_f64 v[44:45], v[36:37], s[8:9]
	s_mov_b32 s11, 0x3fe58eea
	s_mov_b32 s19, 0xbfe58eea
	s_mov_b32 s18, s10
	;; [unrolled: 4-line block ×8, first 2 shown]
	v_fma_f64 v[42:43], s[6:7], v[38:39], v[40:41]
	v_fmac_f64_e32 v[40:41], s[12:13], v[38:39]
	v_fma_f64 v[46:47], s[10:11], v[38:39], v[44:45]
	v_fmac_f64_e32 v[44:45], s[18:19], v[38:39]
	;; [unrolled: 2-line block ×8, first 2 shown]
	v_add_f64 v[38:39], v[168:169], v[128:129]
	v_add_f64 v[42:43], v[124:125], v[42:43]
	;; [unrolled: 1-line block ×17, first 2 shown]
	v_add_f64 v[104:105], v[104:105], -v[208:209]
	v_mul_f64 v[124:125], v[38:39], s[8:9]
	v_fma_f64 v[128:129], s[10:11], v[104:105], v[124:125]
	v_fmac_f64_e32 v[124:125], s[18:19], v[104:105]
	v_add_f64 v[40:41], v[124:125], v[40:41]
	v_mul_f64 v[124:125], v[38:39], s[20:21]
	v_add_f64 v[42:43], v[128:129], v[42:43]
	v_fma_f64 v[128:129], s[22:23], v[104:105], v[124:125]
	v_fmac_f64_e32 v[124:125], s[26:27], v[104:105]
	v_add_f64 v[44:45], v[124:125], v[44:45]
	v_mul_f64 v[124:125], v[38:39], s[36:37]
	v_add_f64 v[46:47], v[128:129], v[46:47]
	;; [unrolled: 5-line block ×6, first 2 shown]
	v_fma_f64 v[128:129], s[24:25], v[104:105], v[124:125]
	v_fmac_f64_e32 v[124:125], s[16:17], v[104:105]
	v_mul_f64 v[38:39], v[38:39], s[0:1]
	v_add_f64 v[120:121], v[124:125], v[120:121]
	v_fma_f64 v[124:125], s[12:13], v[104:105], v[38:39]
	v_fmac_f64_e32 v[38:39], s[6:7], v[104:105]
	v_add_f64 v[36:37], v[38:39], v[36:37]
	v_add_f64 v[38:39], v[152:153], v[154:155]
	v_add_f64 v[86:87], v[88:89], -v[86:87]
	v_mul_f64 v[88:89], v[38:39], s[14:15]
	v_fma_f64 v[104:105], s[16:17], v[86:87], v[88:89]
	v_fmac_f64_e32 v[88:89], s[24:25], v[86:87]
	v_add_f64 v[40:41], v[88:89], v[40:41]
	v_mul_f64 v[88:89], v[38:39], s[36:37]
	v_add_f64 v[42:43], v[104:105], v[42:43]
	v_fma_f64 v[104:105], s[38:39], v[86:87], v[88:89]
	v_fmac_f64_e32 v[88:89], s[40:41], v[86:87]
	v_add_f64 v[44:45], v[88:89], v[44:45]
	v_mul_f64 v[88:89], v[38:39], s[48:49]
	v_add_f64 v[46:47], v[104:105], v[46:47]
	;; [unrolled: 5-line block ×6, first 2 shown]
	v_fma_f64 v[118:119], s[22:23], v[86:87], v[116:117]
	v_fmac_f64_e32 v[116:117], s[26:27], v[86:87]
	v_mul_f64 v[38:39], v[38:39], s[42:43]
	v_add_f64 v[116:117], v[116:117], v[120:121]
	v_fma_f64 v[120:121], s[44:45], v[86:87], v[38:39]
	v_fmac_f64_e32 v[38:39], s[46:47], v[86:87]
	v_add_f64 v[36:37], v[38:39], v[36:37]
	v_add_f64 v[38:39], v[138:139], v[144:145]
	;; [unrolled: 1-line block ×3, first 2 shown]
	v_add_f64 v[84:85], v[164:165], -v[84:85]
	v_mul_f64 v[86:87], v[38:39], s[20:21]
	v_add_f64 v[118:119], v[118:119], v[122:123]
	v_fma_f64 v[122:123], s[22:23], v[84:85], v[86:87]
	v_fmac_f64_e32 v[86:87], s[26:27], v[84:85]
	v_add_f64 v[40:41], v[86:87], v[40:41]
	v_mul_f64 v[86:87], v[38:39], s[48:49]
	v_add_f64 v[42:43], v[122:123], v[42:43]
	v_fma_f64 v[122:123], s[50:51], v[84:85], v[86:87]
	v_fmac_f64_e32 v[86:87], s[52:53], v[84:85]
	v_add_f64 v[44:45], v[86:87], v[44:45]
	;; [unrolled: 5-line block ×6, first 2 shown]
	v_mul_f64 v[110:111], v[38:39], s[36:37]
	v_add_f64 v[114:115], v[122:123], v[114:115]
	v_fma_f64 v[122:123], s[40:41], v[84:85], v[110:111]
	v_fmac_f64_e32 v[110:111], s[38:39], v[84:85]
	v_mul_f64 v[38:39], v[38:39], s[8:9]
	v_add_f64 v[110:111], v[110:111], v[116:117]
	v_fma_f64 v[116:117], s[18:19], v[84:85], v[38:39]
	v_fmac_f64_e32 v[38:39], s[10:11], v[84:85]
	v_add_f64 v[124:125], v[124:125], v[126:127]
	v_add_f64 v[36:37], v[38:39], v[36:37]
	;; [unrolled: 1-line block ×4, first 2 shown]
	v_add_f64 v[74:75], v[150:151], -v[74:75]
	v_mul_f64 v[84:85], v[38:39], s[28:29]
	v_add_f64 v[116:117], v[116:117], v[120:121]
	v_fma_f64 v[120:121], s[30:31], v[74:75], v[84:85]
	v_fmac_f64_e32 v[84:85], s[34:35], v[74:75]
	v_add_f64 v[40:41], v[84:85], v[40:41]
	v_mul_f64 v[84:85], v[38:39], s[42:43]
	v_add_f64 v[42:43], v[120:121], v[42:43]
	v_fma_f64 v[120:121], s[46:47], v[74:75], v[84:85]
	v_fmac_f64_e32 v[84:85], s[44:45], v[74:75]
	v_add_f64 v[44:45], v[84:85], v[44:45]
	;; [unrolled: 5-line block ×6, first 2 shown]
	v_mul_f64 v[106:107], v[38:39], s[0:1]
	v_add_f64 v[114:115], v[120:121], v[114:115]
	v_fma_f64 v[120:121], s[6:7], v[74:75], v[106:107]
	v_fmac_f64_e32 v[106:107], s[12:13], v[74:75]
	v_mul_f64 v[38:39], v[38:39], s[36:37]
	v_add_f64 v[106:107], v[106:107], v[110:111]
	v_fma_f64 v[110:111], s[38:39], v[74:75], v[38:39]
	v_fmac_f64_e32 v[38:39], s[40:41], v[74:75]
	v_add_f64 v[36:37], v[38:39], v[36:37]
	v_add_f64 v[38:39], v[130:131], v[140:141]
	v_add_f64 v[58:59], v[146:147], -v[58:59]
	v_mul_f64 v[74:75], v[38:39], s[36:37]
	v_add_f64 v[110:111], v[110:111], v[116:117]
	v_fma_f64 v[116:117], s[38:39], v[58:59], v[74:75]
	v_fmac_f64_e32 v[74:75], s[40:41], v[58:59]
	v_add_f64 v[40:41], v[74:75], v[40:41]
	v_mul_f64 v[74:75], v[38:39], s[28:29]
	v_add_f64 v[42:43], v[116:117], v[42:43]
	v_fma_f64 v[116:117], s[34:35], v[58:59], v[74:75]
	v_fmac_f64_e32 v[74:75], s[30:31], v[58:59]
	v_add_f64 v[44:45], v[74:75], v[44:45]
	;; [unrolled: 5-line block ×6, first 2 shown]
	v_mul_f64 v[88:89], v[38:39], s[48:49]
	v_add_f64 v[114:115], v[116:117], v[114:115]
	v_fma_f64 v[116:117], s[50:51], v[58:59], v[88:89]
	v_fmac_f64_e32 v[88:89], s[52:53], v[58:59]
	v_mul_f64 v[38:39], v[38:39], s[14:15]
	v_add_f64 v[88:89], v[88:89], v[106:107]
	v_fma_f64 v[106:107], s[24:25], v[58:59], v[38:39]
	v_fmac_f64_e32 v[38:39], s[16:17], v[58:59]
	v_add_f64 v[36:37], v[38:39], v[36:37]
	v_add_f64 v[38:39], v[132:133], v[136:137]
	v_add_f64 v[48:49], v[48:49], -v[56:57]
	v_mul_f64 v[56:57], v[38:39], s[42:43]
	v_fma_f64 v[58:59], s[44:45], v[48:49], v[56:57]
	v_fmac_f64_e32 v[56:57], s[46:47], v[48:49]
	v_add_f64 v[40:41], v[56:57], v[40:41]
	v_mul_f64 v[56:57], v[38:39], s[14:15]
	v_add_f64 v[42:43], v[58:59], v[42:43]
	v_fma_f64 v[58:59], s[24:25], v[48:49], v[56:57]
	v_fmac_f64_e32 v[56:57], s[16:17], v[48:49]
	v_add_f64 v[44:45], v[56:57], v[44:45]
	v_mul_f64 v[56:57], v[38:39], s[20:21]
	v_add_f64 v[46:47], v[58:59], v[46:47]
	v_fma_f64 v[58:59], s[22:23], v[48:49], v[56:57]
	v_fmac_f64_e32 v[56:57], s[26:27], v[48:49]
	v_add_f64 v[56:57], v[56:57], v[70:71]
	v_mul_f64 v[70:71], v[38:39], s[36:37]
	v_add_f64 v[58:59], v[58:59], v[72:73]
	v_fma_f64 v[72:73], s[40:41], v[48:49], v[70:71]
	v_fmac_f64_e32 v[70:71], s[38:39], v[48:49]
	v_add_f64 v[70:71], v[70:71], v[74:75]
	v_mul_f64 v[74:75], v[38:39], s[0:1]
	v_add_f64 v[72:73], v[72:73], v[104:105]
	v_fma_f64 v[104:105], s[6:7], v[48:49], v[74:75]
	v_fmac_f64_e32 v[74:75], s[12:13], v[48:49]
	v_add_f64 v[74:75], v[74:75], v[84:85]
	v_mul_f64 v[84:85], v[38:39], s[48:49]
	v_add_f64 v[104:105], v[104:105], v[108:109]
	v_fma_f64 v[108:109], s[50:51], v[48:49], v[84:85]
	v_fmac_f64_e32 v[84:85], s[52:53], v[48:49]
	v_add_f64 v[84:85], v[84:85], v[86:87]
	v_mul_f64 v[86:87], v[38:39], s[8:9]
	v_add_f64 v[106:107], v[106:107], v[110:111]
	v_fma_f64 v[110:111], s[18:19], v[48:49], v[86:87]
	v_fmac_f64_e32 v[86:87], s[10:11], v[48:49]
	v_mul_f64 v[38:39], v[38:39], s[28:29]
	v_add_f64 v[86:87], v[86:87], v[88:89]
	v_fma_f64 v[88:89], s[30:31], v[48:49], v[38:39]
	v_fmac_f64_e32 v[38:39], s[34:35], v[48:49]
	v_add_f64 v[36:37], v[38:39], v[36:37]
	v_add_f64 v[38:39], v[210:211], v[254:255]
	v_add_f64 v[48:49], v[50:51], -v[68:69]
	v_mul_f64 v[50:51], v[38:39], s[48:49]
	v_fma_f64 v[68:69], s[50:51], v[48:49], v[50:51]
	v_fmac_f64_e32 v[50:51], s[52:53], v[48:49]
	v_add_f64 v[40:41], v[50:51], v[40:41]
	v_mul_f64 v[50:51], v[38:39], s[0:1]
	v_add_f64 v[42:43], v[68:69], v[42:43]
	v_fma_f64 v[68:69], s[12:13], v[48:49], v[50:51]
	v_fmac_f64_e32 v[50:51], s[6:7], v[48:49]
	v_add_f64 v[44:45], v[50:51], v[44:45]
	v_mul_f64 v[50:51], v[38:39], s[42:43]
	v_add_f64 v[46:47], v[68:69], v[46:47]
	;; [unrolled: 5-line block ×6, first 2 shown]
	v_fma_f64 v[106:107], s[30:31], v[48:49], v[84:85]
	v_fmac_f64_e32 v[84:85], s[34:35], v[48:49]
	v_mul_f64 v[38:39], v[38:39], s[20:21]
	v_add_f64 v[84:85], v[84:85], v[86:87]
	v_fma_f64 v[86:87], s[26:27], v[48:49], v[38:39]
	v_fmac_f64_e32 v[38:39], s[22:23], v[48:49]
	v_add_f64 v[118:119], v[122:123], v[118:119]
	v_add_f64 v[36:37], v[38:39], v[36:37]
	v_mov_b32_e32 v38, 3
	v_add_f64 v[118:119], v[120:121], v[118:119]
	v_lshlrev_b32_sdwa v38, v38, v90 dst_sel:DWORD dst_unused:UNUSED_PAD src0_sel:DWORD src1_sel:BYTE_0
	v_add_f64 v[116:117], v[116:117], v[118:119]
	v_add3_u32 v38, 0, v38, v174
	v_add_f64 v[108:109], v[108:109], v[114:115]
	v_add_f64 v[110:111], v[110:111], v[116:117]
	v_add_u32_e32 v39, 0x800, v38
	v_add_f64 v[104:105], v[104:105], v[108:109]
	v_add_f64 v[106:107], v[106:107], v[110:111]
	ds_write2_b64 v39, v[112:113], v[42:43] offset0:220 offset1:227
	ds_write2_b64 v39, v[46:47], v[58:59] offset0:234 offset1:241
	;; [unrolled: 1-line block ×3, first 2 shown]
	v_add_u32_e32 v39, 0x1000, v38
	v_add_f64 v[86:87], v[86:87], v[88:89]
	ds_write2_b64 v39, v[104:105], v[106:107] offset0:6 offset1:13
	ds_write2_b64 v39, v[86:87], v[36:37] offset0:20 offset1:27
	;; [unrolled: 1-line block ×5, first 2 shown]
	ds_write_b64 v38, v[40:41] offset:4704
.LBB0_18:
	s_or_b64 exec, exec, s[2:3]
	s_waitcnt lgkmcnt(0)
	; wave barrier
	s_waitcnt lgkmcnt(0)
	s_and_saveexec_b64 s[0:1], vcc
	s_cbranch_execz .LBB0_20
; %bb.19:
	v_add_u32_e32 v150, 0x66, v234
	v_lshlrev_b32_e32 v146, 2, v150
	v_mov_b32_e32 v147, 0
	v_lshl_add_u64 v[56:57], v[146:147], 4, s[4:5]
	global_load_dwordx4 v[36:39], v[56:57], off offset:1808
	global_load_dwordx4 v[40:43], v[56:57], off offset:1792
	;; [unrolled: 1-line block ×4, first 2 shown]
	v_add_u32_e32 v151, 0x55, v234
	v_lshlrev_b32_e32 v146, 2, v151
	v_add_u32_e32 v154, 0x800, v236
	v_lshl_add_u64 v[56:57], v[146:147], 4, s[4:5]
	ds_read2_b64 v[68:71], v236 offset0:221 offset1:238
	v_add_u32_e32 v142, 0x1000, v236
	ds_read2_b64 v[84:87], v236 offset0:85 offset1:102
	ds_read2_b64 v[104:107], v154 offset0:67 offset1:84
	;; [unrolled: 1-line block ×4, first 2 shown]
	global_load_dwordx4 v[112:115], v[56:57], off offset:1808
	global_load_dwordx4 v[108:111], v[56:57], off offset:1840
	;; [unrolled: 1-line block ×4, first 2 shown]
	s_mov_b32 s0, 0x134454ff
	s_mov_b32 s1, 0x3fee6f0e
	;; [unrolled: 1-line block ×10, first 2 shown]
	v_add_u32_e32 v152, 0x44, v234
	v_lshlrev_b32_e32 v146, 2, v152
	ds_read2_b64 v[156:159], v154 offset0:169 offset1:186
	v_add_u32_e32 v153, 51, v234
	v_mov_b32_e32 v235, v147
	s_movk_i32 s12, 0x1000
	s_waitcnt vmcnt(7)
	v_mul_f64 v[56:57], v[82:83], v[38:39]
	s_waitcnt vmcnt(6)
	v_mul_f64 v[58:59], v[12:13], v[42:43]
	;; [unrolled: 2-line block ×4, first 2 shown]
	s_waitcnt lgkmcnt(3)
	v_mul_f64 v[128:129], v[106:107], v[38:39]
	s_waitcnt lgkmcnt(2)
	v_mul_f64 v[130:131], v[72:73], v[46:47]
	v_mul_f64 v[132:133], v[68:69], v[42:43]
	s_waitcnt lgkmcnt(1)
	v_mul_f64 v[134:135], v[90:91], v[50:51]
	v_fma_f64 v[38:39], v[106:107], v[36:37], -v[56:57]
	v_fma_f64 v[42:43], v[68:69], v[40:41], -v[58:59]
	;; [unrolled: 1-line block ×4, first 2 shown]
	v_fmac_f64_e32 v[128:129], v[82:83], v[36:37]
	v_fmac_f64_e32 v[130:131], v[4:5], v[44:45]
	;; [unrolled: 1-line block ×4, first 2 shown]
	v_add_f64 v[4:5], v[38:39], -v[42:43]
	v_add_f64 v[12:13], v[56:57], -v[58:59]
	v_add_f64 v[40:41], v[42:43], v[58:59]
	v_add_f64 v[44:45], v[42:43], -v[38:39]
	v_add_f64 v[50:51], v[58:59], -v[56:57]
	v_add_f64 v[68:69], v[38:39], v[56:57]
	;; [unrolled: 3-line block ×3, first 2 shown]
	v_add_f64 v[90:91], v[42:43], -v[58:59]
	v_add_f64 v[42:43], v[132:133], v[134:135]
	v_add_f64 v[4:5], v[4:5], v[12:13]
	v_fma_f64 v[46:47], -0.5, v[40:41], v[86:87]
	v_add_f64 v[12:13], v[44:45], v[50:51]
	v_fma_f64 v[50:51], -0.5, v[68:69], v[86:87]
	v_add_f64 v[106:107], v[38:39], -v[56:57]
	v_add_f64 v[40:41], v[38:39], v[72:73]
	v_fma_f64 v[44:45], -0.5, v[42:43], v[94:95]
	v_fma_f64 v[42:43], s[0:1], v[36:37], v[46:47]
	v_fmac_f64_e32 v[46:47], s[8:9], v[36:37]
	v_fma_f64 v[38:39], s[8:9], v[48:49], v[50:51]
	v_fmac_f64_e32 v[50:51], s[0:1], v[48:49]
	v_fmac_f64_e32 v[42:43], s[2:3], v[48:49]
	;; [unrolled: 1-line block ×9, first 2 shown]
	v_add_f64 v[4:5], v[132:133], -v[128:129]
	v_add_f64 v[12:13], v[134:135], -v[130:131]
	v_add_f64 v[4:5], v[4:5], v[12:13]
	v_add_f64 v[12:13], v[128:129], v[130:131]
	v_fma_f64 v[48:49], -0.5, v[12:13], v[94:95]
	v_fma_f64 v[36:37], s[0:1], v[90:91], v[48:49]
	v_fmac_f64_e32 v[48:49], s[8:9], v[90:91]
	v_fmac_f64_e32 v[36:37], s[10:11], v[106:107]
	;; [unrolled: 1-line block ×5, first 2 shown]
	v_add_f64 v[4:5], v[94:95], v[132:133]
	v_add_f64 v[4:5], v[128:129], v[4:5]
	;; [unrolled: 1-line block ×4, first 2 shown]
	v_lshl_add_u64 v[12:13], v[146:147], 4, s[4:5]
	v_add_f64 v[78:79], v[128:129], -v[132:133]
	v_add_f64 v[82:83], v[130:131], -v[134:135]
	v_add_f64 v[58:59], v[58:59], v[56:57]
	global_load_dwordx4 v[130:133], v[12:13], off offset:1808
	v_add_f64 v[56:57], v[4:5], v[134:135]
	global_load_dwordx4 v[134:137], v[12:13], off offset:1792
	ds_read2_b64 v[120:123], v236 offset0:187 offset1:204
	global_load_dwordx4 v[138:141], v[12:13], off offset:1840
	global_load_dwordx4 v[160:163], v[12:13], off offset:1824
	v_fma_f64 v[40:41], s[8:9], v[106:107], v[44:45]
	v_fmac_f64_e32 v[44:45], s[0:1], v[106:107]
	v_add_f64 v[68:69], v[78:79], v[82:83]
	v_fmac_f64_e32 v[40:41], s[10:11], v[90:91]
	v_fmac_f64_e32 v[44:45], s[2:3], v[90:91]
	s_waitcnt vmcnt(7)
	v_mul_f64 v[4:5], v[80:81], v[114:115]
	v_fmac_f64_e32 v[40:41], s[6:7], v[68:69]
	v_fmac_f64_e32 v[44:45], s[6:7], v[68:69]
	v_fma_f64 v[4:5], v[104:105], v[112:113], -v[4:5]
	s_waitcnt vmcnt(4)
	v_mul_f64 v[68:69], v[98:99], v[118:119]
	v_mul_f64 v[72:73], v[102:103], v[126:127]
	;; [unrolled: 1-line block ×4, first 2 shown]
	s_waitcnt lgkmcnt(0)
	v_fma_f64 v[12:13], v[122:123], v[116:117], -v[68:69]
	v_fma_f64 v[72:73], v[158:159], v[124:125], -v[72:73]
	;; [unrolled: 1-line block ×3, first 2 shown]
	v_fmac_f64_e32 v[104:105], v[80:81], v[112:113]
	v_mul_f64 v[112:113], v[158:159], v[126:127]
	v_add_f64 v[68:69], v[4:5], -v[12:13]
	v_add_f64 v[78:79], v[72:73], -v[106:107]
	v_fmac_f64_e32 v[112:113], v[102:103], v[124:125]
	v_mul_f64 v[102:103], v[122:123], v[118:119]
	v_add_f64 v[68:69], v[68:69], v[78:79]
	v_add_f64 v[78:79], v[12:13], v[106:107]
	v_fmac_f64_e32 v[102:103], v[98:99], v[116:117]
	v_mul_f64 v[98:99], v[88:89], v[110:111]
	v_add_f64 v[80:81], v[104:105], -v[112:113]
	v_fma_f64 v[86:87], -0.5, v[78:79], v[84:85]
	v_fmac_f64_e32 v[98:99], v[76:77], v[108:109]
	v_fma_f64 v[78:79], s[0:1], v[80:81], v[86:87]
	v_add_f64 v[76:77], v[102:103], -v[98:99]
	v_fmac_f64_e32 v[86:87], s[8:9], v[80:81]
	v_fmac_f64_e32 v[78:79], s[2:3], v[76:77]
	;; [unrolled: 1-line block ×5, first 2 shown]
	v_add_f64 v[68:69], v[12:13], -v[4:5]
	v_add_f64 v[82:83], v[106:107], -v[72:73]
	v_add_f64 v[68:69], v[68:69], v[82:83]
	v_add_f64 v[82:83], v[4:5], v[72:73]
	v_fma_f64 v[90:91], -0.5, v[82:83], v[84:85]
	v_fma_f64 v[82:83], s[8:9], v[76:77], v[90:91]
	v_fmac_f64_e32 v[90:91], s[0:1], v[76:77]
	v_fmac_f64_e32 v[82:83], s[2:3], v[80:81]
	;; [unrolled: 1-line block ×5, first 2 shown]
	v_add_f64 v[68:69], v[12:13], v[84:85]
	v_add_f64 v[68:69], v[4:5], v[68:69]
	;; [unrolled: 1-line block ×4, first 2 shown]
	v_add_f64 v[68:69], v[104:105], -v[102:103]
	v_add_f64 v[76:77], v[112:113], -v[98:99]
	v_add_f64 v[68:69], v[68:69], v[76:77]
	v_add_f64 v[76:77], v[102:103], v[98:99]
	v_fma_f64 v[84:85], -0.5, v[76:77], v[92:93]
	v_add_f64 v[4:5], v[4:5], -v[72:73]
	v_add_f64 v[12:13], v[12:13], -v[106:107]
	v_fma_f64 v[76:77], s[8:9], v[4:5], v[84:85]
	v_fmac_f64_e32 v[84:85], s[0:1], v[4:5]
	v_fmac_f64_e32 v[76:77], s[10:11], v[12:13]
	;; [unrolled: 1-line block ×5, first 2 shown]
	v_add_f64 v[68:69], v[102:103], -v[104:105]
	v_add_f64 v[72:73], v[98:99], -v[112:113]
	v_add_f64 v[68:69], v[68:69], v[72:73]
	v_add_f64 v[72:73], v[104:105], v[112:113]
	v_fma_f64 v[88:89], -0.5, v[72:73], v[92:93]
	v_fma_f64 v[80:81], s[0:1], v[12:13], v[88:89]
	v_fmac_f64_e32 v[88:89], s[8:9], v[12:13]
	v_fmac_f64_e32 v[80:81], s[10:11], v[4:5]
	;; [unrolled: 1-line block ×3, first 2 shown]
	v_add_f64 v[4:5], v[92:93], v[102:103]
	v_add_f64 v[4:5], v[104:105], v[4:5]
	v_lshlrev_b32_e32 v146, 2, v153
	v_add_f64 v[4:5], v[4:5], v[112:113]
	ds_read2_b64 v[112:115], v154 offset0:33 offset1:50
	v_lshl_add_u64 v[12:13], v[146:147], 4, s[4:5]
	ds_read2_b64 v[142:145], v142 offset0:15 offset1:32
	global_load_dwordx4 v[122:125], v[12:13], off offset:1808
	global_load_dwordx4 v[126:129], v[12:13], off offset:1792
	global_load_dwordx4 v[164:167], v[12:13], off offset:1840
	global_load_dwordx4 v[168:171], v[12:13], off offset:1824
	ds_read2_b64 v[116:119], v236 offset0:51 offset1:68
	v_fmac_f64_e32 v[80:81], s[6:7], v[68:69]
	v_fmac_f64_e32 v[88:89], s[6:7], v[68:69]
	v_add_f64 v[92:93], v[4:5], v[98:99]
	s_waitcnt vmcnt(7)
	v_mul_f64 v[4:5], v[66:67], v[132:133]
	s_waitcnt vmcnt(6)
	v_mul_f64 v[68:69], v[96:97], v[136:137]
	;; [unrolled: 2-line block ×3, first 2 shown]
	v_mul_f64 v[12:13], v[62:63], v[140:141]
	s_waitcnt lgkmcnt(2)
	v_fma_f64 v[4:5], v[114:115], v[130:131], -v[4:5]
	v_fma_f64 v[72:73], v[120:121], v[134:135], -v[68:69]
	;; [unrolled: 1-line block ×3, first 2 shown]
	s_waitcnt lgkmcnt(1)
	v_fma_f64 v[12:13], v[144:145], v[138:139], -v[12:13]
	v_add_f64 v[68:69], v[4:5], -v[72:73]
	v_add_f64 v[98:99], v[104:105], -v[12:13]
	v_mul_f64 v[108:109], v[114:115], v[132:133]
	v_mul_f64 v[114:115], v[156:157], v[162:163]
	v_add_f64 v[98:99], v[68:69], v[98:99]
	v_fmac_f64_e32 v[108:109], v[66:67], v[130:131]
	v_fmac_f64_e32 v[114:115], v[100:101], v[160:161]
	v_add_f64 v[68:69], v[72:73], v[12:13]
	v_mul_f64 v[120:121], v[120:121], v[136:137]
	v_mul_f64 v[130:131], v[144:145], v[140:141]
	v_add_f64 v[66:67], v[108:109], -v[114:115]
	s_waitcnt lgkmcnt(0)
	v_fma_f64 v[102:103], -0.5, v[68:69], v[118:119]
	v_fmac_f64_e32 v[120:121], v[96:97], v[134:135]
	v_fmac_f64_e32 v[130:131], v[62:63], v[138:139]
	v_fma_f64 v[68:69], s[0:1], v[66:67], v[102:103]
	v_add_f64 v[62:63], v[120:121], -v[130:131]
	v_fmac_f64_e32 v[102:103], s[8:9], v[66:67]
	v_fmac_f64_e32 v[68:69], s[2:3], v[62:63]
	;; [unrolled: 1-line block ×5, first 2 shown]
	v_add_f64 v[96:97], v[72:73], -v[4:5]
	v_add_f64 v[98:99], v[12:13], -v[104:105]
	v_add_f64 v[96:97], v[96:97], v[98:99]
	v_add_f64 v[98:99], v[4:5], v[104:105]
	v_fma_f64 v[106:107], -0.5, v[98:99], v[118:119]
	v_fma_f64 v[98:99], s[8:9], v[62:63], v[106:107]
	v_fmac_f64_e32 v[106:107], s[0:1], v[62:63]
	v_add_f64 v[62:63], v[72:73], v[118:119]
	v_add_f64 v[62:63], v[4:5], v[62:63]
	;; [unrolled: 1-line block ×3, first 2 shown]
	v_fmac_f64_e32 v[98:99], s[2:3], v[66:67]
	v_fmac_f64_e32 v[106:107], s[10:11], v[66:67]
	v_add_f64 v[110:111], v[12:13], v[62:63]
	v_add_f64 v[62:63], v[108:109], -v[120:121]
	v_add_f64 v[66:67], v[114:115], -v[130:131]
	v_add_f64 v[62:63], v[62:63], v[66:67]
	v_add_f64 v[66:67], v[120:121], v[130:131]
	v_fma_f64 v[100:101], -0.5, v[66:67], v[54:55]
	v_add_f64 v[4:5], v[4:5], -v[104:105]
	v_add_f64 v[12:13], v[72:73], -v[12:13]
	v_fma_f64 v[66:67], s[8:9], v[4:5], v[100:101]
	v_fmac_f64_e32 v[100:101], s[0:1], v[4:5]
	v_fmac_f64_e32 v[66:67], s[10:11], v[12:13]
	;; [unrolled: 1-line block ×5, first 2 shown]
	v_add_f64 v[62:63], v[120:121], -v[108:109]
	v_add_f64 v[72:73], v[130:131], -v[114:115]
	v_add_f64 v[62:63], v[62:63], v[72:73]
	v_add_f64 v[72:73], v[108:109], v[114:115]
	v_fma_f64 v[104:105], -0.5, v[72:73], v[54:55]
	v_fmac_f64_e32 v[98:99], s[6:7], v[96:97]
	v_fmac_f64_e32 v[106:107], s[6:7], v[96:97]
	v_fma_f64 v[96:97], s[0:1], v[12:13], v[104:105]
	v_fmac_f64_e32 v[104:105], s[8:9], v[12:13]
	v_fmac_f64_e32 v[96:97], s[10:11], v[4:5]
	v_fmac_f64_e32 v[104:105], s[2:3], v[4:5]
	v_add_f64 v[4:5], v[54:55], v[120:121]
	v_add_f64 v[4:5], v[108:109], v[4:5]
	;; [unrolled: 1-line block ×3, first 2 shown]
	v_lshlrev_b32_e32 v146, 2, v179
	v_add_f64 v[108:109], v[4:5], v[130:131]
	v_lshl_add_u64 v[4:5], v[146:147], 4, s[4:5]
	global_load_dwordx4 v[156:159], v[4:5], off offset:1808
	global_load_dwordx4 v[130:133], v[4:5], off offset:1792
	ds_read2_b64 v[134:137], v236 offset0:153 offset1:170
	ds_read2_b64 v[160:163], v154 offset0:135 offset1:152
	global_load_dwordx4 v[172:175], v[4:5], off offset:1840
	global_load_dwordx4 v[180:183], v[4:5], off offset:1824
	v_fmac_f64_e32 v[96:97], s[6:7], v[62:63]
	v_fmac_f64_e32 v[104:105], s[6:7], v[62:63]
	s_waitcnt vmcnt(4)
	v_mul_f64 v[62:63], v[34:35], v[170:171]
	v_mul_f64 v[12:13], v[64:65], v[124:125]
	;; [unrolled: 1-line block ×3, first 2 shown]
	s_waitcnt lgkmcnt(0)
	v_fma_f64 v[72:73], v[162:163], v[168:169], -v[62:63]
	v_mul_f64 v[62:63], v[60:61], v[166:167]
	v_fma_f64 v[12:13], v[112:113], v[122:123], -v[12:13]
	v_fma_f64 v[4:5], v[136:137], v[126:127], -v[54:55]
	v_fma_f64 v[120:121], v[142:143], v[164:165], -v[62:63]
	v_mul_f64 v[124:125], v[112:113], v[124:125]
	v_add_f64 v[54:55], v[12:13], -v[4:5]
	v_add_f64 v[62:63], v[72:73], -v[120:121]
	v_fmac_f64_e32 v[124:125], v[64:65], v[122:123]
	v_mul_f64 v[64:65], v[162:163], v[170:171]
	v_mul_f64 v[128:129], v[136:137], v[128:129]
	v_add_f64 v[54:55], v[54:55], v[62:63]
	v_fmac_f64_e32 v[64:65], v[34:35], v[168:169]
	v_add_f64 v[62:63], v[4:5], v[120:121]
	v_fmac_f64_e32 v[128:129], v[30:31], v[126:127]
	v_mul_f64 v[30:31], v[142:143], v[166:167]
	v_add_f64 v[34:35], v[124:125], -v[64:65]
	v_fma_f64 v[118:119], -0.5, v[62:63], v[116:117]
	v_fmac_f64_e32 v[30:31], v[60:61], v[164:165]
	v_fma_f64 v[62:63], s[0:1], v[34:35], v[118:119]
	v_add_f64 v[60:61], v[128:129], -v[30:31]
	v_fmac_f64_e32 v[118:119], s[8:9], v[34:35]
	v_fmac_f64_e32 v[62:63], s[2:3], v[60:61]
	;; [unrolled: 1-line block ×5, first 2 shown]
	v_add_f64 v[54:55], v[4:5], -v[12:13]
	v_add_f64 v[112:113], v[120:121], -v[72:73]
	v_add_f64 v[54:55], v[54:55], v[112:113]
	v_add_f64 v[112:113], v[12:13], v[72:73]
	v_fma_f64 v[122:123], -0.5, v[112:113], v[116:117]
	v_fma_f64 v[114:115], s[8:9], v[60:61], v[122:123]
	v_fmac_f64_e32 v[122:123], s[0:1], v[60:61]
	v_fmac_f64_e32 v[114:115], s[2:3], v[34:35]
	;; [unrolled: 1-line block ×3, first 2 shown]
	v_add_f64 v[34:35], v[4:5], v[116:117]
	v_add_f64 v[34:35], v[12:13], v[34:35]
	;; [unrolled: 1-line block ×3, first 2 shown]
	v_fmac_f64_e32 v[114:115], s[6:7], v[54:55]
	v_fmac_f64_e32 v[122:123], s[6:7], v[54:55]
	v_add_f64 v[54:55], v[120:121], v[34:35]
	v_add_f64 v[34:35], v[124:125], -v[128:129]
	v_add_f64 v[60:61], v[64:65], -v[30:31]
	v_add_f64 v[34:35], v[34:35], v[60:61]
	v_add_f64 v[60:61], v[128:129], v[30:31]
	v_fma_f64 v[116:117], -0.5, v[60:61], v[52:53]
	v_add_f64 v[12:13], v[12:13], -v[72:73]
	v_add_f64 v[4:5], v[4:5], -v[120:121]
	v_fma_f64 v[60:61], s[8:9], v[12:13], v[116:117]
	v_fmac_f64_e32 v[116:117], s[0:1], v[12:13]
	v_fmac_f64_e32 v[60:61], s[10:11], v[4:5]
	;; [unrolled: 1-line block ×5, first 2 shown]
	v_add_f64 v[34:35], v[128:129], -v[124:125]
	v_add_f64 v[72:73], v[30:31], -v[64:65]
	v_add_f64 v[34:35], v[34:35], v[72:73]
	v_add_f64 v[72:73], v[124:125], v[64:65]
	v_fma_f64 v[120:121], -0.5, v[72:73], v[52:53]
	v_fma_f64 v[112:113], s[0:1], v[4:5], v[120:121]
	v_fmac_f64_e32 v[120:121], s[8:9], v[4:5]
	v_fmac_f64_e32 v[112:113], s[10:11], v[12:13]
	;; [unrolled: 1-line block ×3, first 2 shown]
	v_add_u32_e32 v12, 0x400, v236
	ds_read2_b64 v[136:139], v12 offset0:127 offset1:144
	v_add_f64 v[4:5], v[52:53], v[128:129]
	v_fmac_f64_e32 v[112:113], s[6:7], v[34:35]
	v_fmac_f64_e32 v[120:121], s[6:7], v[34:35]
	v_add_f64 v[4:5], v[124:125], v[4:5]
	v_accvgpr_read_b32 v34, a2
	ds_read2_b64 v[142:145], v154 offset0:237 offset1:254
	v_add_f64 v[4:5], v[4:5], v[64:65]
	v_lshlrev_b32_e32 v146, 2, v34
	v_add_f64 v[52:53], v[4:5], v[30:31]
	s_waitcnt vmcnt(3)
	v_mul_f64 v[4:5], v[26:27], v[158:159]
	v_lshl_add_u64 v[34:35], v[146:147], 4, s[4:5]
	s_waitcnt lgkmcnt(1)
	v_fma_f64 v[4:5], v[138:139], v[156:157], -v[4:5]
	global_load_dwordx4 v[162:165], v[34:35], off offset:1808
	global_load_dwordx4 v[166:169], v[34:35], off offset:1792
	;; [unrolled: 1-line block ×4, first 2 shown]
	v_mul_f64 v[158:159], v[138:139], v[158:159]
	ds_read2_b64 v[138:141], v236 offset0:17 offset1:34
	s_waitcnt vmcnt(6)
	v_mul_f64 v[12:13], v[28:29], v[132:133]
	s_waitcnt vmcnt(4)
	v_mul_f64 v[64:65], v[32:33], v[182:183]
	v_mul_f64 v[34:35], v[22:23], v[174:175]
	v_fma_f64 v[12:13], v[134:135], v[130:131], -v[12:13]
	v_fma_f64 v[64:65], v[160:161], v[180:181], -v[64:65]
	s_waitcnt lgkmcnt(1)
	v_fma_f64 v[72:73], v[144:145], v[172:173], -v[34:35]
	v_add_f64 v[30:31], v[4:5], -v[12:13]
	v_add_f64 v[34:35], v[64:65], -v[72:73]
	v_fmac_f64_e32 v[158:159], v[26:27], v[156:157]
	v_mul_f64 v[26:27], v[160:161], v[182:183]
	v_add_f64 v[124:125], v[30:31], v[34:35]
	v_fmac_f64_e32 v[26:27], v[32:33], v[180:181]
	v_add_f64 v[30:31], v[12:13], v[72:73]
	v_mul_f64 v[132:133], v[134:135], v[132:133]
	v_mul_f64 v[144:145], v[144:145], v[174:175]
	v_add_f64 v[32:33], v[158:159], -v[26:27]
	s_waitcnt lgkmcnt(0)
	v_fma_f64 v[34:35], -0.5, v[30:31], v[140:141]
	v_fmac_f64_e32 v[132:133], v[28:29], v[130:131]
	v_fmac_f64_e32 v[144:145], v[22:23], v[172:173]
	v_fma_f64 v[30:31], s[0:1], v[32:33], v[34:35]
	v_add_f64 v[22:23], v[132:133], -v[144:145]
	v_fmac_f64_e32 v[34:35], s[8:9], v[32:33]
	v_fmac_f64_e32 v[30:31], s[2:3], v[22:23]
	;; [unrolled: 1-line block ×5, first 2 shown]
	v_add_f64 v[28:29], v[12:13], -v[4:5]
	v_add_f64 v[124:125], v[72:73], -v[64:65]
	v_add_f64 v[28:29], v[28:29], v[124:125]
	v_add_f64 v[124:125], v[4:5], v[64:65]
	v_fma_f64 v[130:131], -0.5, v[124:125], v[140:141]
	v_fma_f64 v[126:127], s[8:9], v[22:23], v[130:131]
	v_fmac_f64_e32 v[130:131], s[0:1], v[22:23]
	v_add_f64 v[22:23], v[12:13], v[140:141]
	v_add_f64 v[22:23], v[4:5], v[22:23]
	v_fmac_f64_e32 v[126:127], s[2:3], v[32:33]
	v_fmac_f64_e32 v[130:131], s[10:11], v[32:33]
	v_add_f64 v[22:23], v[64:65], v[22:23]
	v_fmac_f64_e32 v[126:127], s[6:7], v[28:29]
	v_fmac_f64_e32 v[130:131], s[6:7], v[28:29]
	v_add_f64 v[134:135], v[72:73], v[22:23]
	v_add_f64 v[22:23], v[158:159], -v[132:133]
	v_add_f64 v[28:29], v[26:27], -v[144:145]
	v_add_f64 v[22:23], v[22:23], v[28:29]
	v_add_f64 v[28:29], v[132:133], v[144:145]
	v_fma_f64 v[32:33], -0.5, v[28:29], v[18:19]
	v_add_f64 v[4:5], v[4:5], -v[64:65]
	v_add_f64 v[12:13], v[12:13], -v[72:73]
	v_fma_f64 v[28:29], s[8:9], v[4:5], v[32:33]
	v_fmac_f64_e32 v[32:33], s[0:1], v[4:5]
	v_fmac_f64_e32 v[28:29], s[10:11], v[12:13]
	;; [unrolled: 1-line block ×5, first 2 shown]
	v_add_f64 v[22:23], v[132:133], -v[158:159]
	v_add_f64 v[64:65], v[144:145], -v[26:27]
	v_add_f64 v[22:23], v[22:23], v[64:65]
	v_add_f64 v[64:65], v[158:159], v[26:27]
	v_fma_f64 v[128:129], -0.5, v[64:65], v[18:19]
	v_fma_f64 v[124:125], s[0:1], v[12:13], v[128:129]
	v_fmac_f64_e32 v[128:129], s[8:9], v[12:13]
	v_lshlrev_b32_e32 v146, 2, v234
	v_fmac_f64_e32 v[124:125], s[10:11], v[4:5]
	v_fmac_f64_e32 v[128:129], s[2:3], v[4:5]
	v_add_f64 v[4:5], v[18:19], v[132:133]
	v_lshl_add_u64 v[12:13], v[146:147], 4, s[4:5]
	v_add_f64 v[4:5], v[158:159], v[4:5]
	global_load_dwordx4 v[156:159], v[12:13], off offset:1808
	global_load_dwordx4 v[170:173], v[12:13], off offset:1792
	;; [unrolled: 1-line block ×4, first 2 shown]
	ds_read2_b64 v[196:199], v154 offset0:101 offset1:118
	ds_read2_b64 v[192:195], v236 offset0:119 offset1:136
	v_add_f64 v[4:5], v[4:5], v[26:27]
	v_add_f64 v[132:133], v[4:5], v[144:145]
	v_fmac_f64_e32 v[124:125], s[6:7], v[22:23]
	s_waitcnt vmcnt(7)
	v_mul_f64 v[4:5], v[24:25], v[164:165]
	v_fma_f64 v[18:19], v[136:137], v[162:163], -v[4:5]
	s_waitcnt vmcnt(4)
	v_mul_f64 v[12:13], v[10:11], v[190:191]
	v_mul_f64 v[4:5], v[2:3], v[168:169]
	s_waitcnt lgkmcnt(1)
	v_fma_f64 v[26:27], v[198:199], v[188:189], -v[12:13]
	v_mul_f64 v[12:13], v[20:21], v[186:187]
	v_fmac_f64_e32 v[128:129], s[6:7], v[22:23]
	s_waitcnt lgkmcnt(0)
	v_fma_f64 v[22:23], v[194:195], v[166:167], -v[4:5]
	v_fma_f64 v[64:65], v[142:143], v[184:185], -v[12:13]
	v_add_f64 v[4:5], v[18:19], -v[22:23]
	v_add_f64 v[12:13], v[26:27], -v[64:65]
	v_mul_f64 v[136:137], v[136:137], v[164:165]
	v_mul_f64 v[140:141], v[198:199], v[190:191]
	v_add_f64 v[72:73], v[4:5], v[12:13]
	v_fmac_f64_e32 v[136:137], v[24:25], v[162:163]
	v_fmac_f64_e32 v[140:141], v[10:11], v[188:189]
	v_add_f64 v[4:5], v[22:23], v[64:65]
	v_mul_f64 v[144:145], v[194:195], v[168:169]
	v_mul_f64 v[142:143], v[142:143], v[186:187]
	v_add_f64 v[10:11], v[136:137], -v[140:141]
	v_fma_f64 v[4:5], -0.5, v[4:5], v[138:139]
	v_fmac_f64_e32 v[144:145], v[2:3], v[166:167]
	v_fmac_f64_e32 v[142:143], v[20:21], v[184:185]
	v_fma_f64 v[12:13], s[0:1], v[10:11], v[4:5]
	v_add_f64 v[2:3], v[144:145], -v[142:143]
	v_fmac_f64_e32 v[4:5], s[8:9], v[10:11]
	v_fmac_f64_e32 v[12:13], s[2:3], v[2:3]
	;; [unrolled: 1-line block ×3, first 2 shown]
	v_add_f64 v[20:21], v[22:23], -v[18:19]
	v_add_f64 v[24:25], v[64:65], -v[26:27]
	v_fmac_f64_e32 v[12:13], s[6:7], v[72:73]
	v_fmac_f64_e32 v[4:5], s[6:7], v[72:73]
	v_add_f64 v[72:73], v[20:21], v[24:25]
	v_add_f64 v[20:21], v[18:19], v[26:27]
	v_fma_f64 v[20:21], -0.5, v[20:21], v[138:139]
	v_fma_f64 v[24:25], s[8:9], v[2:3], v[20:21]
	v_fmac_f64_e32 v[20:21], s[0:1], v[2:3]
	v_add_f64 v[2:3], v[22:23], v[138:139]
	v_add_f64 v[2:3], v[18:19], v[2:3]
	;; [unrolled: 1-line block ×3, first 2 shown]
	v_fmac_f64_e32 v[24:25], s[2:3], v[10:11]
	v_fmac_f64_e32 v[20:21], s[10:11], v[10:11]
	v_add_f64 v[138:139], v[64:65], v[2:3]
	v_add_f64 v[2:3], v[136:137], -v[144:145]
	v_add_f64 v[10:11], v[140:141], -v[142:143]
	v_fmac_f64_e32 v[24:25], s[6:7], v[72:73]
	v_fmac_f64_e32 v[20:21], s[6:7], v[72:73]
	v_add_f64 v[72:73], v[2:3], v[10:11]
	v_add_f64 v[2:3], v[144:145], v[142:143]
	v_fma_f64 v[2:3], -0.5, v[2:3], v[16:17]
	v_add_f64 v[26:27], v[18:19], -v[26:27]
	v_add_f64 v[64:65], v[22:23], -v[64:65]
	v_fma_f64 v[10:11], s[8:9], v[26:27], v[2:3]
	v_fmac_f64_e32 v[2:3], s[0:1], v[26:27]
	v_fmac_f64_e32 v[10:11], s[10:11], v[64:65]
	;; [unrolled: 1-line block ×3, first 2 shown]
	v_add_f64 v[18:19], v[144:145], -v[136:137]
	v_add_f64 v[22:23], v[142:143], -v[140:141]
	v_fmac_f64_e32 v[10:11], s[6:7], v[72:73]
	v_fmac_f64_e32 v[2:3], s[6:7], v[72:73]
	v_add_f64 v[72:73], v[18:19], v[22:23]
	v_add_f64 v[18:19], v[136:137], v[140:141]
	v_fma_f64 v[18:19], -0.5, v[18:19], v[16:17]
	v_add_f64 v[16:17], v[16:17], v[144:145]
	v_add_f64 v[16:17], v[136:137], v[16:17]
	v_fma_f64 v[22:23], s[0:1], v[64:65], v[18:19]
	v_fmac_f64_e32 v[18:19], s[8:9], v[64:65]
	v_add_f64 v[16:17], v[16:17], v[140:141]
	v_fmac_f64_e32 v[22:23], s[10:11], v[26:27]
	v_fmac_f64_e32 v[18:19], s[2:3], v[26:27]
	v_add_f64 v[136:137], v[16:17], v[142:143]
	v_fmac_f64_e32 v[22:23], s[6:7], v[72:73]
	s_waitcnt vmcnt(3)
	v_mul_f64 v[154:155], v[70:71], v[158:159]
	v_mul_f64 v[16:17], v[14:15], v[158:159]
	v_fmac_f64_e32 v[154:155], v[14:15], v[156:157]
	ds_read_b64 v[14:15], v178
	v_fmac_f64_e32 v[18:19], s[6:7], v[72:73]
	s_waitcnt vmcnt(0)
	v_mul_f64 v[72:73], v[8:9], v[182:183]
	v_fma_f64 v[26:27], v[70:71], v[156:157], -v[16:17]
	v_mul_f64 v[16:17], v[0:1], v[172:173]
	v_fma_f64 v[140:141], v[196:197], v[180:181], -v[72:73]
	;; [unrolled: 2-line block ×3, first 2 shown]
	v_fma_f64 v[144:145], v[74:75], v[174:175], -v[72:73]
	v_mul_f64 v[158:159], v[196:197], v[182:183]
	v_mul_f64 v[160:161], v[192:193], v[172:173]
	v_fmac_f64_e32 v[158:159], v[8:9], v[180:181]
	v_add_f64 v[8:9], v[64:65], v[144:145]
	v_fmac_f64_e32 v[160:161], v[0:1], v[170:171]
	v_mul_f64 v[0:1], v[74:75], v[176:177]
	v_add_f64 v[16:17], v[26:27], -v[64:65]
	v_add_f64 v[72:73], v[140:141], -v[144:145]
	;; [unrolled: 1-line block ×3, first 2 shown]
	s_waitcnt lgkmcnt(0)
	v_fma_f64 v[8:9], -0.5, v[8:9], v[14:15]
	v_fmac_f64_e32 v[0:1], v[6:7], v[174:175]
	v_add_f64 v[72:73], v[16:17], v[72:73]
	v_fma_f64 v[16:17], s[0:1], v[70:71], v[8:9]
	v_add_f64 v[6:7], v[160:161], -v[0:1]
	v_fmac_f64_e32 v[8:9], s[8:9], v[70:71]
	v_fmac_f64_e32 v[16:17], s[2:3], v[6:7]
	;; [unrolled: 1-line block ×5, first 2 shown]
	v_add_f64 v[72:73], v[64:65], -v[26:27]
	v_add_f64 v[74:75], v[144:145], -v[140:141]
	v_add_f64 v[74:75], v[72:73], v[74:75]
	v_add_f64 v[72:73], v[26:27], v[140:141]
	v_fma_f64 v[72:73], -0.5, v[72:73], v[14:15]
	v_fma_f64 v[142:143], s[8:9], v[6:7], v[72:73]
	v_fmac_f64_e32 v[72:73], s[0:1], v[6:7]
	v_add_f64 v[6:7], v[64:65], v[14:15]
	v_add_f64 v[6:7], v[26:27], v[6:7]
	;; [unrolled: 1-line block ×4, first 2 shown]
	v_add_f64 v[6:7], v[154:155], -v[160:161]
	v_add_f64 v[14:15], v[158:159], -v[0:1]
	v_fmac_f64_e32 v[142:143], s[2:3], v[70:71]
	v_fmac_f64_e32 v[72:73], s[10:11], v[70:71]
	v_add_f64 v[70:71], v[6:7], v[14:15]
	v_add_f64 v[6:7], v[160:161], v[0:1]
	v_fma_f64 v[6:7], -0.5, v[6:7], v[148:149]
	v_add_f64 v[26:27], v[26:27], -v[140:141]
	v_add_f64 v[64:65], v[64:65], -v[144:145]
	v_fma_f64 v[14:15], s[8:9], v[26:27], v[6:7]
	v_fmac_f64_e32 v[6:7], s[0:1], v[26:27]
	v_fmac_f64_e32 v[14:15], s[10:11], v[64:65]
	;; [unrolled: 1-line block ×7, first 2 shown]
	v_add_f64 v[70:71], v[160:161], -v[154:155]
	v_add_f64 v[74:75], v[0:1], -v[158:159]
	v_add_f64 v[74:75], v[70:71], v[74:75]
	v_add_f64 v[70:71], v[154:155], v[158:159]
	v_fma_f64 v[70:71], -0.5, v[70:71], v[148:149]
	v_fma_f64 v[140:141], s[0:1], v[64:65], v[70:71]
	v_fmac_f64_e32 v[70:71], s[8:9], v[64:65]
	v_fmac_f64_e32 v[140:141], s[10:11], v[26:27]
	;; [unrolled: 1-line block ×3, first 2 shown]
	v_add_f64 v[26:27], v[148:149], v[160:161]
	v_add_f64 v[26:27], v[154:155], v[26:27]
	;; [unrolled: 1-line block ×4, first 2 shown]
	v_accvgpr_read_b32 v0, a0
	v_accvgpr_read_b32 v1, a1
	v_lshl_add_u64 v[0:1], v[234:235], 4, v[0:1]
	v_fmac_f64_e32 v[70:71], s[6:7], v[74:75]
	global_store_dwordx4 v[0:1], v[154:157], off
	global_store_dwordx4 v[0:1], v[70:73], off offset:1904
	global_store_dwordx4 v[0:1], v[6:9], off offset:3808
	s_mov_b32 s2, 0x44d72045
	v_fmac_f64_e32 v[140:141], s[6:7], v[74:75]
	v_add_co_u32_e32 v6, vcc, s12, v0
	s_mov_b64 s[0:1], 0x220
	s_nop 0
	v_addc_co_u32_e32 v7, vcc, 0, v1, vcc
	global_store_dwordx4 v[6:7], v[14:17], off offset:1616
	global_store_dwordx4 v[6:7], v[140:143], off offset:3520
	;; [unrolled: 1-line block ×7, first 2 shown]
	v_mul_hi_u32 v2, v179, s2
	v_lshrrev_b32_e32 v2, 5, v2
	v_mul_u32_u24_e32 v146, 0x1dc, v2
	v_lshl_add_u64 v[2:3], v[146:147], 4, v[0:1]
	v_lshl_add_u64 v[4:5], v[2:3], 0, s[0:1]
	global_store_dwordx4 v[2:3], v[132:135], off offset:544
	global_store_dwordx4 v[2:3], v[128:131], off offset:2448
	;; [unrolled: 1-line block ×3, first 2 shown]
	v_add_co_u32_e32 v2, vcc, s12, v2
	s_mov_b64 s[0:1], 0x330
	s_nop 0
	v_addc_co_u32_e32 v3, vcc, 0, v3, vcc
	global_store_dwordx4 v[2:3], v[28:31], off offset:2160
	global_store_dwordx4 v[2:3], v[124:127], off offset:4064
	v_mul_hi_u32 v2, v153, s2
	v_lshrrev_b32_e32 v2, 5, v2
	v_mul_u32_u24_e32 v146, 0x1dc, v2
	v_lshl_add_u64 v[2:3], v[146:147], 4, v[0:1]
	v_lshl_add_u64 v[4:5], v[2:3], 0, s[0:1]
	global_store_dwordx4 v[2:3], v[52:55], off offset:816
	global_store_dwordx4 v[2:3], v[120:123], off offset:2720
	;; [unrolled: 1-line block ×3, first 2 shown]
	v_add_co_u32_e32 v4, vcc, s12, v2
	s_movk_i32 s3, 0x2000
	s_nop 0
	v_addc_co_u32_e32 v5, vcc, 0, v3, vcc
	v_add_co_u32_e32 v2, vcc, s3, v2
	s_mov_b64 s[0:1], 0x440
	s_nop 0
	v_addc_co_u32_e32 v3, vcc, 0, v3, vcc
	global_store_dwordx4 v[2:3], v[112:115], off offset:240
	v_mul_hi_u32 v2, v152, s2
	v_lshrrev_b32_e32 v2, 5, v2
	v_mul_u32_u24_e32 v146, 0x1dc, v2
	v_lshl_add_u64 v[2:3], v[146:147], 4, v[0:1]
	global_store_dwordx4 v[4:5], v[60:63], off offset:2432
	v_lshl_add_u64 v[4:5], v[2:3], 0, s[0:1]
	global_store_dwordx4 v[2:3], v[108:111], off offset:1088
	global_store_dwordx4 v[2:3], v[104:107], off offset:2992
	;; [unrolled: 1-line block ×3, first 2 shown]
	v_add_co_u32_e32 v4, vcc, s12, v2
	s_mov_b64 s[0:1], 0x550
	s_nop 0
	v_addc_co_u32_e32 v5, vcc, 0, v3, vcc
	v_add_co_u32_e32 v2, vcc, s3, v2
	global_store_dwordx4 v[4:5], v[66:69], off offset:2704
	s_nop 0
	v_addc_co_u32_e32 v3, vcc, 0, v3, vcc
	global_store_dwordx4 v[2:3], v[96:99], off offset:512
	v_mul_hi_u32 v2, v151, s2
	v_lshrrev_b32_e32 v2, 5, v2
	v_mul_u32_u24_e32 v146, 0x1dc, v2
	v_lshl_add_u64 v[2:3], v[146:147], 4, v[0:1]
	v_lshl_add_u64 v[4:5], v[2:3], 0, s[0:1]
	global_store_dwordx4 v[2:3], v[92:95], off offset:1360
	global_store_dwordx4 v[2:3], v[88:91], off offset:3264
	;; [unrolled: 1-line block ×3, first 2 shown]
	v_add_co_u32_e32 v4, vcc, s12, v2
	s_mov_b64 s[0:1], 0x660
	s_nop 0
	v_addc_co_u32_e32 v5, vcc, 0, v3, vcc
	v_add_co_u32_e32 v2, vcc, s3, v2
	global_store_dwordx4 v[4:5], v[76:79], off offset:2976
	s_nop 0
	v_addc_co_u32_e32 v3, vcc, 0, v3, vcc
	global_store_dwordx4 v[2:3], v[80:83], off offset:784
	v_mul_hi_u32 v2, v150, s2
	v_lshrrev_b32_e32 v2, 5, v2
	v_mul_u32_u24_e32 v146, 0x1dc, v2
	v_lshl_add_u64 v[0:1], v[146:147], 4, v[0:1]
	v_lshl_add_u64 v[2:3], v[0:1], 0, s[0:1]
	global_store_dwordx4 v[0:1], v[56:59], off offset:1632
	global_store_dwordx4 v[0:1], v[48:51], off offset:3536
	;; [unrolled: 1-line block ×3, first 2 shown]
	v_add_co_u32_e32 v2, vcc, 0x1000, v0
	s_nop 1
	v_addc_co_u32_e32 v3, vcc, 0, v1, vcc
	v_add_co_u32_e32 v0, vcc, 0x2000, v0
	global_store_dwordx4 v[2:3], v[40:43], off offset:3248
	s_nop 0
	v_addc_co_u32_e32 v1, vcc, 0, v1, vcc
	global_store_dwordx4 v[0:1], v[36:39], off offset:1056
.LBB0_20:
	s_endpgm
	.section	.rodata,"a",@progbits
	.p2align	6, 0x0
	.amdhsa_kernel fft_rtc_back_len595_factors_7_17_5_wgs_51_tpt_17_halfLds_dp_ip_CI_unitstride_sbrr_dirReg
		.amdhsa_group_segment_fixed_size 0
		.amdhsa_private_segment_fixed_size 0
		.amdhsa_kernarg_size 88
		.amdhsa_user_sgpr_count 2
		.amdhsa_user_sgpr_dispatch_ptr 0
		.amdhsa_user_sgpr_queue_ptr 0
		.amdhsa_user_sgpr_kernarg_segment_ptr 1
		.amdhsa_user_sgpr_dispatch_id 0
		.amdhsa_user_sgpr_kernarg_preload_length 0
		.amdhsa_user_sgpr_kernarg_preload_offset 0
		.amdhsa_user_sgpr_private_segment_size 0
		.amdhsa_uses_dynamic_stack 0
		.amdhsa_enable_private_segment 0
		.amdhsa_system_sgpr_workgroup_id_x 1
		.amdhsa_system_sgpr_workgroup_id_y 0
		.amdhsa_system_sgpr_workgroup_id_z 0
		.amdhsa_system_sgpr_workgroup_info 0
		.amdhsa_system_vgpr_workitem_id 0
		.amdhsa_next_free_vgpr 320
		.amdhsa_next_free_sgpr 56
		.amdhsa_accum_offset 256
		.amdhsa_reserve_vcc 1
		.amdhsa_float_round_mode_32 0
		.amdhsa_float_round_mode_16_64 0
		.amdhsa_float_denorm_mode_32 3
		.amdhsa_float_denorm_mode_16_64 3
		.amdhsa_dx10_clamp 1
		.amdhsa_ieee_mode 1
		.amdhsa_fp16_overflow 0
		.amdhsa_tg_split 0
		.amdhsa_exception_fp_ieee_invalid_op 0
		.amdhsa_exception_fp_denorm_src 0
		.amdhsa_exception_fp_ieee_div_zero 0
		.amdhsa_exception_fp_ieee_overflow 0
		.amdhsa_exception_fp_ieee_underflow 0
		.amdhsa_exception_fp_ieee_inexact 0
		.amdhsa_exception_int_div_zero 0
	.end_amdhsa_kernel
	.text
.Lfunc_end0:
	.size	fft_rtc_back_len595_factors_7_17_5_wgs_51_tpt_17_halfLds_dp_ip_CI_unitstride_sbrr_dirReg, .Lfunc_end0-fft_rtc_back_len595_factors_7_17_5_wgs_51_tpt_17_halfLds_dp_ip_CI_unitstride_sbrr_dirReg
                                        ; -- End function
	.section	.AMDGPU.csdata,"",@progbits
; Kernel info:
; codeLenInByte = 31316
; NumSgprs: 62
; NumVgprs: 256
; NumAgprs: 64
; TotalNumVgprs: 320
; ScratchSize: 0
; MemoryBound: 1
; FloatMode: 240
; IeeeMode: 1
; LDSByteSize: 0 bytes/workgroup (compile time only)
; SGPRBlocks: 7
; VGPRBlocks: 39
; NumSGPRsForWavesPerEU: 62
; NumVGPRsForWavesPerEU: 320
; AccumOffset: 256
; Occupancy: 1
; WaveLimiterHint : 1
; COMPUTE_PGM_RSRC2:SCRATCH_EN: 0
; COMPUTE_PGM_RSRC2:USER_SGPR: 2
; COMPUTE_PGM_RSRC2:TRAP_HANDLER: 0
; COMPUTE_PGM_RSRC2:TGID_X_EN: 1
; COMPUTE_PGM_RSRC2:TGID_Y_EN: 0
; COMPUTE_PGM_RSRC2:TGID_Z_EN: 0
; COMPUTE_PGM_RSRC2:TIDIG_COMP_CNT: 0
; COMPUTE_PGM_RSRC3_GFX90A:ACCUM_OFFSET: 63
; COMPUTE_PGM_RSRC3_GFX90A:TG_SPLIT: 0
	.text
	.p2alignl 6, 3212836864
	.fill 256, 4, 3212836864
	.type	__hip_cuid_a63d1f5593faa500,@object ; @__hip_cuid_a63d1f5593faa500
	.section	.bss,"aw",@nobits
	.globl	__hip_cuid_a63d1f5593faa500
__hip_cuid_a63d1f5593faa500:
	.byte	0                               ; 0x0
	.size	__hip_cuid_a63d1f5593faa500, 1

	.ident	"AMD clang version 19.0.0git (https://github.com/RadeonOpenCompute/llvm-project roc-6.4.0 25133 c7fe45cf4b819c5991fe208aaa96edf142730f1d)"
	.section	".note.GNU-stack","",@progbits
	.addrsig
	.addrsig_sym __hip_cuid_a63d1f5593faa500
	.amdgpu_metadata
---
amdhsa.kernels:
  - .agpr_count:     64
    .args:
      - .actual_access:  read_only
        .address_space:  global
        .offset:         0
        .size:           8
        .value_kind:     global_buffer
      - .offset:         8
        .size:           8
        .value_kind:     by_value
      - .actual_access:  read_only
        .address_space:  global
        .offset:         16
        .size:           8
        .value_kind:     global_buffer
      - .actual_access:  read_only
        .address_space:  global
        .offset:         24
        .size:           8
        .value_kind:     global_buffer
      - .offset:         32
        .size:           8
        .value_kind:     by_value
      - .actual_access:  read_only
        .address_space:  global
        .offset:         40
        .size:           8
        .value_kind:     global_buffer
      - .actual_access:  read_only
        .address_space:  global
        .offset:         48
        .size:           8
        .value_kind:     global_buffer
      - .offset:         56
        .size:           4
        .value_kind:     by_value
      - .actual_access:  read_only
        .address_space:  global
        .offset:         64
        .size:           8
        .value_kind:     global_buffer
      - .actual_access:  read_only
        .address_space:  global
        .offset:         72
        .size:           8
        .value_kind:     global_buffer
      - .address_space:  global
        .offset:         80
        .size:           8
        .value_kind:     global_buffer
    .group_segment_fixed_size: 0
    .kernarg_segment_align: 8
    .kernarg_segment_size: 88
    .language:       OpenCL C
    .language_version:
      - 2
      - 0
    .max_flat_workgroup_size: 51
    .name:           fft_rtc_back_len595_factors_7_17_5_wgs_51_tpt_17_halfLds_dp_ip_CI_unitstride_sbrr_dirReg
    .private_segment_fixed_size: 0
    .sgpr_count:     62
    .sgpr_spill_count: 0
    .symbol:         fft_rtc_back_len595_factors_7_17_5_wgs_51_tpt_17_halfLds_dp_ip_CI_unitstride_sbrr_dirReg.kd
    .uniform_work_group_size: 1
    .uses_dynamic_stack: false
    .vgpr_count:     320
    .vgpr_spill_count: 0
    .wavefront_size: 64
amdhsa.target:   amdgcn-amd-amdhsa--gfx950
amdhsa.version:
  - 1
  - 2
...

	.end_amdgpu_metadata
